;; amdgpu-corpus repo=ROCm/rocFFT kind=compiled arch=gfx906 opt=O3
	.text
	.amdgcn_target "amdgcn-amd-amdhsa--gfx906"
	.amdhsa_code_object_version 6
	.protected	bluestein_single_back_len416_dim1_dp_op_CI_CI ; -- Begin function bluestein_single_back_len416_dim1_dp_op_CI_CI
	.globl	bluestein_single_back_len416_dim1_dp_op_CI_CI
	.p2align	8
	.type	bluestein_single_back_len416_dim1_dp_op_CI_CI,@function
bluestein_single_back_len416_dim1_dp_op_CI_CI: ; @bluestein_single_back_len416_dim1_dp_op_CI_CI
; %bb.0:
	s_load_dwordx4 s[16:19], s[4:5], 0x28
	s_mov_b64 s[50:51], s[2:3]
	v_lshrrev_b32_e32 v1, 5, v0
	v_mov_b32_e32 v74, 0
	s_mov_b64 s[48:49], s[0:1]
	v_lshl_or_b32 v205, s6, 1, v1
	v_mov_b32_e32 v206, v74
	s_add_u32 s48, s48, s7
	s_waitcnt lgkmcnt(0)
	v_cmp_gt_u64_e32 vcc, s[16:17], v[205:206]
	s_addc_u32 s49, s49, 0
	s_and_saveexec_b64 s[0:1], vcc
	s_cbranch_execz .LBB0_18
; %bb.1:
	s_load_dwordx4 s[0:3], s[4:5], 0x18
	s_load_dwordx4 s[12:15], s[4:5], 0x0
	v_and_b32_e32 v234, 31, v0
	v_lshlrev_b32_e32 v226, 4, v234
	v_or_b32_e32 v36, 0x180, v234
	s_waitcnt lgkmcnt(0)
	s_load_dwordx4 s[8:11], s[0:1], 0x0
	v_lshlrev_b32_e32 v227, 4, v36
	v_and_b32_e32 v0, 32, v0
	v_mov_b32_e32 v73, 0x1a0
	s_mov_b32 s6, 0xe00740e9
	s_waitcnt lgkmcnt(0)
	v_mad_u64_u32 v[1:2], s[0:1], s10, v205, 0
	v_mad_u64_u32 v[3:4], s[0:1], s8, v234, 0
	s_mov_b32 s7, 0x3fec55a7
	s_mov_b32 s26, 0x42a4c3d2
	v_mad_u64_u32 v[5:6], s[0:1], s11, v205, v[2:3]
	s_mov_b32 s36, 0x66966769
	s_mov_b32 s20, 0x2ef20147
	v_mad_u64_u32 v[6:7], s[0:1], s9, v234, v[4:5]
	v_mov_b32_e32 v2, v5
	v_lshlrev_b64 v[1:2], 4, v[1:2]
	v_mov_b32_e32 v4, v6
	v_mov_b32_e32 v7, s19
	v_lshlrev_b64 v[3:4], 4, v[3:4]
	v_add_co_u32_e32 v1, vcc, s18, v1
	v_addc_co_u32_e32 v2, vcc, v7, v2, vcc
	v_add_co_u32_e32 v1, vcc, v1, v3
	v_addc_co_u32_e32 v2, vcc, v2, v4, vcc
	global_load_dwordx4 v[53:56], v[1:2], off
	s_lshl_b64 s[0:1], s[8:9], 9
	global_load_dwordx4 v[49:52], v226, s[12:13]
	global_load_dwordx4 v[25:28], v226, s[12:13] offset:512
	v_mov_b32_e32 v35, s1
	v_add_co_u32_e32 v1, vcc, s0, v1
	v_addc_co_u32_e32 v2, vcc, v2, v35, vcc
	v_add_co_u32_e32 v3, vcc, s0, v1
	v_addc_co_u32_e32 v4, vcc, v2, v35, vcc
	global_load_dwordx4 v[57:60], v[1:2], off
	global_load_dwordx4 v[61:64], v[3:4], off
	v_add_co_u32_e32 v1, vcc, s0, v3
	v_addc_co_u32_e32 v2, vcc, v4, v35, vcc
	v_add_co_u32_e32 v3, vcc, s0, v1
	v_addc_co_u32_e32 v4, vcc, v2, v35, vcc
	global_load_dwordx4 v[37:40], v226, s[12:13] offset:1024
	global_load_dwordx4 v[29:32], v226, s[12:13] offset:1536
	global_load_dwordx4 v[65:68], v[1:2], off
	global_load_dwordx4 v[69:72], v[3:4], off
	v_add_co_u32_e32 v1, vcc, s0, v3
	v_addc_co_u32_e32 v2, vcc, v4, v35, vcc
	global_load_dwordx4 v[75:78], v[1:2], off
	global_load_dwordx4 v[41:44], v226, s[12:13] offset:2048
	global_load_dwordx4 v[21:24], v226, s[12:13] offset:2560
	v_add_co_u32_e32 v1, vcc, s0, v1
	v_addc_co_u32_e32 v2, vcc, v2, v35, vcc
	global_load_dwordx4 v[79:82], v[1:2], off
	v_add_co_u32_e32 v1, vcc, s0, v1
	v_addc_co_u32_e32 v2, vcc, v2, v35, vcc
	global_load_dwordx4 v[83:86], v[1:2], off
	global_load_dwordx4 v[45:48], v226, s[12:13] offset:3072
	global_load_dwordx4 v[13:16], v226, s[12:13] offset:3584
	v_add_co_u32_e32 v1, vcc, s0, v1
	v_addc_co_u32_e32 v2, vcc, v2, v35, vcc
	global_load_dwordx4 v[87:90], v[1:2], off
	v_add_co_u32_e32 v1, vcc, s0, v1
	v_addc_co_u32_e32 v2, vcc, v2, v35, vcc
	v_or_b32_e32 v3, 0x100, v234
	v_add_co_u32_e32 v5, vcc, s0, v1
	v_lshlrev_b32_e32 v231, 4, v3
	v_or_b32_e32 v3, 0x120, v234
	v_addc_co_u32_e32 v6, vcc, v2, v35, vcc
	global_load_dwordx4 v[17:20], v231, s[12:13]
	v_lshlrev_b32_e32 v230, 4, v3
	v_or_b32_e32 v3, 0x140, v234
	v_add_co_u32_e32 v33, vcc, s0, v5
	global_load_dwordx4 v[91:94], v[1:2], off
	global_load_dwordx4 v[9:12], v230, s[12:13]
	v_lshlrev_b32_e32 v229, 4, v3
	global_load_dwordx4 v[1:4], v229, s[12:13]
	v_or_b32_e32 v7, 0x160, v234
	v_addc_co_u32_e32 v34, vcc, v6, v35, vcc
	global_load_dwordx4 v[95:98], v[5:6], off
	global_load_dwordx4 v[99:102], v[33:34], off
	v_lshlrev_b32_e32 v228, 4, v7
	v_add_co_u32_e32 v33, vcc, s0, v33
	global_load_dwordx4 v[5:8], v228, s[12:13]
	v_addc_co_u32_e32 v34, vcc, v34, v35, vcc
	global_load_dwordx4 v[103:106], v[33:34], off
	v_cmp_ne_u32_e32 vcc, 0, v0
	global_load_dwordx4 v[33:36], v227, s[12:13]
	v_cndmask_b32_e32 v232, 0, v73, vcc
	v_or_b32_e32 v0, v232, v234
	v_lshlrev_b32_e32 v255, 4, v0
	v_lshl_or_b32 v0, v232, 4, v226
	s_waitcnt vmcnt(24)
	v_mul_f64 v[107:108], v[55:56], v[51:52]
	v_mul_f64 v[109:110], v[53:54], v[51:52]
	s_load_dwordx4 s[8:11], s[2:3], 0x0
	s_mov_b32 s19, 0xbfddbe06
	s_mov_b32 s18, 0x4267c47c
	;; [unrolled: 1-line block ×5, first 2 shown]
	v_fma_f64 v[53:54], v[53:54], v[49:50], v[107:108]
	v_fma_f64 v[55:56], v[55:56], v[49:50], -v[109:110]
	s_waitcnt vmcnt(22)
	v_mul_f64 v[107:108], v[59:60], v[27:28]
	v_mul_f64 v[109:110], v[57:58], v[27:28]
	s_mov_b32 s37, 0xbfefc445
	s_mov_b32 s21, 0xbfedeba7
	s_mov_b32 s25, 0xbfe5384d
	s_mov_b32 s35, 0xbfcea1e5
	s_mov_b32 s2, 0x1ea71119
	ds_write_b128 v255, v[53:56]
	v_fma_f64 v[57:58], v[57:58], v[25:26], v[107:108]
	s_waitcnt vmcnt(20)
	v_mul_f64 v[111:112], v[63:64], v[39:40]
	v_mul_f64 v[113:114], v[61:62], v[39:40]
	s_waitcnt vmcnt(18)
	v_mul_f64 v[115:116], v[67:68], v[31:32]
	v_mul_f64 v[117:118], v[65:66], v[31:32]
	v_fma_f64 v[59:60], v[59:60], v[25:26], -v[109:110]
	s_mov_b32 s0, 0xebaa3ed8
	s_waitcnt vmcnt(15)
	v_mul_f64 v[119:120], v[71:72], v[43:44]
	v_mul_f64 v[121:122], v[69:70], v[43:44]
	v_fma_f64 v[61:62], v[61:62], v[37:38], v[111:112]
	v_fma_f64 v[63:64], v[63:64], v[37:38], -v[113:114]
	v_fma_f64 v[65:66], v[65:66], v[29:30], v[115:116]
	v_fma_f64 v[67:68], v[67:68], v[29:30], -v[117:118]
	s_waitcnt vmcnt(14)
	v_mul_f64 v[53:54], v[77:78], v[23:24]
	v_mul_f64 v[55:56], v[75:76], v[23:24]
	v_fma_f64 v[69:70], v[69:70], v[41:42], v[119:120]
	v_fma_f64 v[71:72], v[71:72], v[41:42], -v[121:122]
	ds_write_b128 v0, v[57:60] offset:512
	ds_write_b128 v0, v[61:64] offset:1024
	;; [unrolled: 1-line block ×4, first 2 shown]
	s_waitcnt vmcnt(11)
	v_mul_f64 v[57:58], v[81:82], v[47:48]
	v_mul_f64 v[59:60], v[79:80], v[47:48]
	s_waitcnt vmcnt(10)
	v_mul_f64 v[61:62], v[85:86], v[15:16]
	v_mul_f64 v[63:64], v[83:84], v[15:16]
	v_fma_f64 v[53:54], v[75:76], v[21:22], v[53:54]
	v_fma_f64 v[55:56], v[77:78], v[21:22], -v[55:56]
	s_mov_b32 s16, 0xb2365da1
	s_mov_b32 s22, 0xd0032e0c
	v_fma_f64 v[57:58], v[79:80], v[45:46], v[57:58]
	v_fma_f64 v[59:60], v[81:82], v[45:46], -v[59:60]
	v_fma_f64 v[61:62], v[83:84], v[13:14], v[61:62]
	v_fma_f64 v[63:64], v[85:86], v[13:14], -v[63:64]
	s_mov_b32 s30, 0x93053d00
	s_waitcnt vmcnt(8)
	v_mul_f64 v[65:66], v[89:90], v[19:20]
	v_mul_f64 v[67:68], v[87:88], v[19:20]
	s_mov_b32 s3, 0x3fe22d96
	s_mov_b32 s1, 0x3fbedb7d
	;; [unrolled: 1-line block ×4, first 2 shown]
	s_waitcnt vmcnt(6)
	v_mul_f64 v[69:70], v[93:94], v[11:12]
	v_mul_f64 v[71:72], v[91:92], v[11:12]
	v_fma_f64 v[65:66], v[87:88], v[17:18], v[65:66]
	v_fma_f64 v[67:68], v[89:90], v[17:18], -v[67:68]
	s_mov_b32 s31, 0xbfef11f4
	s_mov_b32 s39, 0x3fe5384d
	s_waitcnt vmcnt(4)
	v_mul_f64 v[75:76], v[97:98], v[3:4]
	v_mul_f64 v[77:78], v[95:96], v[3:4]
	v_fma_f64 v[69:70], v[91:92], v[9:10], v[69:70]
	v_fma_f64 v[71:72], v[93:94], v[9:10], -v[71:72]
	s_mov_b32 s38, s24
	s_waitcnt vmcnt(2)
	v_mul_f64 v[79:80], v[101:102], v[7:8]
	v_mul_f64 v[81:82], v[99:100], v[7:8]
	s_mov_b32 s29, 0x3fefc445
	v_fma_f64 v[75:76], v[95:96], v[1:2], v[75:76]
	v_fma_f64 v[77:78], v[97:98], v[1:2], -v[77:78]
	s_waitcnt vmcnt(0)
	v_mul_f64 v[83:84], v[105:106], v[35:36]
	v_mul_f64 v[85:86], v[103:104], v[35:36]
	s_mov_b32 s28, s36
	v_fma_f64 v[79:80], v[99:100], v[5:6], v[79:80]
	v_fma_f64 v[81:82], v[101:102], v[5:6], -v[81:82]
	s_mov_b32 s41, 0x3fedeba7
	s_mov_b32 s40, s20
	s_load_dwordx2 s[4:5], s[4:5], 0x38
	v_fma_f64 v[83:84], v[103:104], v[33:34], v[83:84]
	v_fma_f64 v[85:86], v[105:106], v[33:34], -v[85:86]
	ds_write_b128 v0, v[53:56] offset:2560
	ds_write_b128 v0, v[57:60] offset:3072
	;; [unrolled: 1-line block ×8, first 2 shown]
	s_waitcnt lgkmcnt(0)
	; wave barrier
	s_waitcnt lgkmcnt(0)
	ds_read_b128 v[75:78], v255
	ds_read_b128 v[53:56], v0 offset:512
	ds_read_b128 v[79:82], v0 offset:1024
	;; [unrolled: 1-line block ×5, first 2 shown]
	s_waitcnt lgkmcnt(4)
	v_add_f64 v[57:58], v[75:76], v[53:54]
	v_add_f64 v[59:60], v[77:78], v[55:56]
	v_or_b32_e32 v73, 0xc0, v234
	s_waitcnt lgkmcnt(3)
	v_add_f64 v[57:58], v[57:58], v[79:80]
	v_add_f64 v[59:60], v[59:60], v[81:82]
	s_waitcnt lgkmcnt(2)
	v_add_f64 v[57:58], v[57:58], v[83:84]
	v_add_f64 v[59:60], v[59:60], v[85:86]
	s_waitcnt lgkmcnt(1)
	v_add_f64 v[57:58], v[57:58], v[87:88]
	v_add_f64 v[59:60], v[59:60], v[89:90]
	s_waitcnt lgkmcnt(0)
	v_add_f64 v[61:62], v[57:58], v[65:66]
	v_add_f64 v[63:64], v[59:60], v[67:68]
	ds_read_b128 v[57:60], v0 offset:3072
	s_waitcnt lgkmcnt(0)
	v_add_f64 v[69:70], v[61:62], v[57:58]
	v_add_f64 v[71:72], v[63:64], v[59:60]
	ds_read_b128 v[61:64], v0 offset:3584
	s_waitcnt lgkmcnt(0)
	v_add_f64 v[91:92], v[69:70], v[61:62]
	v_add_f64 v[93:94], v[71:72], v[63:64]
	;; [unrolled: 4-line block ×3, first 2 shown]
	ds_read_b128 v[91:94], v0 offset:4608
	ds_read_b128 v[95:98], v0 offset:6144
	s_waitcnt lgkmcnt(0)
	v_add_f64 v[111:112], v[55:56], -v[97:98]
	v_add_f64 v[107:108], v[99:100], v[91:92]
	v_add_f64 v[109:110], v[101:102], v[93:94]
	v_add_f64 v[113:114], v[53:54], -v[95:96]
	ds_read_b128 v[99:102], v0 offset:5120
	ds_read_b128 v[103:106], v0 offset:5632
	v_add_f64 v[115:116], v[53:54], v[95:96]
	v_add_f64 v[117:118], v[55:56], v[97:98]
	s_waitcnt lgkmcnt(0)
	v_mul_f64 v[119:120], v[111:112], s[18:19]
	v_add_f64 v[107:108], v[107:108], v[99:100]
	v_add_f64 v[109:110], v[109:110], v[101:102]
	v_mul_f64 v[121:122], v[113:114], s[18:19]
	v_mul_f64 v[123:124], v[111:112], s[36:37]
	;; [unrolled: 1-line block ×6, first 2 shown]
	v_add_f64 v[53:54], v[107:108], v[103:104]
	v_add_f64 v[55:56], v[109:110], v[105:106]
	v_fma_f64 v[107:108], v[115:116], s[6:7], -v[119:120]
	v_fma_f64 v[109:110], v[117:118], s[6:7], v[121:122]
	v_mul_f64 v[141:142], v[113:114], s[24:25]
	v_add_f64 v[151:152], v[81:82], -v[105:106]
	v_add_f64 v[153:154], v[79:80], -v[103:104]
	v_fma_f64 v[131:132], v[115:116], s[0:1], -v[123:124]
	v_add_f64 v[53:54], v[53:54], v[95:96]
	v_add_f64 v[55:56], v[55:56], v[97:98]
	;; [unrolled: 1-line block ×4, first 2 shown]
	v_fma_f64 v[107:108], v[115:116], s[6:7], v[119:120]
	v_fma_f64 v[109:110], v[117:118], s[6:7], -v[121:122]
	v_mul_f64 v[119:120], v[111:112], s[26:27]
	v_mul_f64 v[121:122], v[113:114], s[26:27]
	;; [unrolled: 1-line block ×4, first 2 shown]
	v_fma_f64 v[133:134], v[117:118], s[0:1], v[125:126]
	v_fma_f64 v[123:124], v[115:116], s[0:1], v[123:124]
	v_fma_f64 v[125:126], v[117:118], s[0:1], -v[125:126]
	v_fma_f64 v[143:144], v[115:116], s[16:17], -v[135:136]
	;; [unrolled: 1-line block ×3, first 2 shown]
	v_fma_f64 v[129:130], v[117:118], s[2:3], v[121:122]
	v_fma_f64 v[119:120], v[115:116], s[2:3], v[119:120]
	v_fma_f64 v[121:122], v[117:118], s[2:3], -v[121:122]
	v_fma_f64 v[145:146], v[117:118], s[16:17], v[137:138]
	v_fma_f64 v[135:136], v[115:116], s[16:17], v[135:136]
	v_fma_f64 v[137:138], v[117:118], s[16:17], -v[137:138]
	v_fma_f64 v[147:148], v[115:116], s[22:23], -v[139:140]
	v_fma_f64 v[149:150], v[117:118], s[22:23], v[141:142]
	v_fma_f64 v[139:140], v[115:116], s[22:23], v[139:140]
	v_fma_f64 v[141:142], v[117:118], s[22:23], -v[141:142]
	v_add_f64 v[79:80], v[79:80], v[103:104]
	v_add_f64 v[81:82], v[81:82], v[105:106]
	v_mul_f64 v[103:104], v[151:152], s[26:27]
	v_mul_f64 v[105:106], v[153:154], s[26:27]
	v_fma_f64 v[155:156], v[115:116], s[30:31], -v[111:112]
	v_fma_f64 v[157:158], v[117:118], s[30:31], v[113:114]
	v_fma_f64 v[111:112], v[115:116], s[30:31], v[111:112]
	v_fma_f64 v[113:114], v[117:118], s[30:31], -v[113:114]
	v_add_f64 v[107:108], v[75:76], v[107:108]
	v_add_f64 v[109:110], v[77:78], v[109:110]
	v_add_f64 v[127:128], v[75:76], v[127:128]
	v_add_f64 v[129:130], v[77:78], v[129:130]
	v_add_f64 v[119:120], v[75:76], v[119:120]
	v_add_f64 v[121:122], v[77:78], v[121:122]
	v_add_f64 v[131:132], v[75:76], v[131:132]
	v_add_f64 v[133:134], v[77:78], v[133:134]
	v_add_f64 v[123:124], v[75:76], v[123:124]
	v_add_f64 v[125:126], v[77:78], v[125:126]
	v_add_f64 v[143:144], v[75:76], v[143:144]
	v_add_f64 v[145:146], v[77:78], v[145:146]
	v_add_f64 v[135:136], v[75:76], v[135:136]
	v_add_f64 v[137:138], v[77:78], v[137:138]
	v_add_f64 v[147:148], v[75:76], v[147:148]
	v_add_f64 v[149:150], v[77:78], v[149:150]
	v_add_f64 v[115:116], v[75:76], v[139:140]
	v_add_f64 v[117:118], v[77:78], v[141:142]
	v_fma_f64 v[139:140], v[79:80], s[2:3], -v[103:104]
	v_fma_f64 v[141:142], v[81:82], s[2:3], v[105:106]
	v_add_f64 v[155:156], v[75:76], v[155:156]
	v_add_f64 v[157:158], v[77:78], v[157:158]
	;; [unrolled: 1-line block ×4, first 2 shown]
	v_mul_f64 v[111:112], v[151:152], s[20:21]
	v_mul_f64 v[113:114], v[153:154], s[20:21]
	v_add_f64 v[95:96], v[139:140], v[95:96]
	v_add_f64 v[97:98], v[141:142], v[97:98]
	v_mul_f64 v[139:140], v[151:152], s[34:35]
	v_mul_f64 v[141:142], v[153:154], s[34:35]
	v_fma_f64 v[103:104], v[79:80], s[2:3], v[103:104]
	v_fma_f64 v[105:106], v[81:82], s[2:3], -v[105:106]
	v_fma_f64 v[159:160], v[79:80], s[16:17], -v[111:112]
	v_fma_f64 v[161:162], v[81:82], s[16:17], v[113:114]
	v_fma_f64 v[111:112], v[79:80], s[16:17], v[111:112]
	v_fma_f64 v[113:114], v[81:82], s[16:17], -v[113:114]
	v_fma_f64 v[163:164], v[79:80], s[30:31], -v[139:140]
	v_fma_f64 v[165:166], v[81:82], s[30:31], v[141:142]
	v_add_f64 v[103:104], v[103:104], v[107:108]
	v_add_f64 v[105:106], v[105:106], v[109:110]
	;; [unrolled: 1-line block ×4, first 2 shown]
	v_mul_f64 v[127:128], v[151:152], s[38:39]
	v_mul_f64 v[129:130], v[153:154], s[38:39]
	v_add_f64 v[111:112], v[111:112], v[119:120]
	v_add_f64 v[113:114], v[113:114], v[121:122]
	;; [unrolled: 1-line block ×4, first 2 shown]
	v_mul_f64 v[131:132], v[151:152], s[28:29]
	v_fma_f64 v[133:134], v[79:80], s[30:31], v[139:140]
	v_fma_f64 v[139:140], v[81:82], s[30:31], -v[141:142]
	v_mul_f64 v[141:142], v[153:154], s[28:29]
	v_fma_f64 v[159:160], v[79:80], s[22:23], -v[127:128]
	v_fma_f64 v[161:162], v[81:82], s[22:23], v[129:130]
	v_fma_f64 v[129:130], v[81:82], s[22:23], -v[129:130]
	v_fma_f64 v[127:128], v[79:80], s[22:23], v[127:128]
	v_fma_f64 v[163:164], v[79:80], s[0:1], -v[131:132]
	v_add_f64 v[123:124], v[133:134], v[123:124]
	v_add_f64 v[125:126], v[139:140], v[125:126]
	v_fma_f64 v[133:134], v[81:82], s[0:1], v[141:142]
	v_add_f64 v[139:140], v[159:160], v[143:144]
	v_add_f64 v[143:144], v[161:162], v[145:146]
	;; [unrolled: 1-line block ×3, first 2 shown]
	v_add_f64 v[137:138], v[85:86], -v[101:102]
	v_add_f64 v[145:146], v[83:84], -v[99:100]
	s_mov_b32 s19, 0x3fddbe06
	v_add_f64 v[127:128], v[127:128], v[135:136]
	v_add_f64 v[135:136], v[163:164], v[147:148]
	;; [unrolled: 1-line block ×3, first 2 shown]
	v_mul_f64 v[147:148], v[151:152], s[18:19]
	v_mul_f64 v[149:150], v[153:154], s[18:19]
	v_add_f64 v[83:84], v[83:84], v[99:100]
	v_add_f64 v[85:86], v[85:86], v[101:102]
	v_mul_f64 v[99:100], v[137:138], s[36:37]
	v_mul_f64 v[101:102], v[145:146], s[36:37]
	v_fma_f64 v[131:132], v[79:80], s[0:1], v[131:132]
	v_fma_f64 v[141:142], v[81:82], s[0:1], -v[141:142]
	v_fma_f64 v[151:152], v[79:80], s[6:7], -v[147:148]
	v_fma_f64 v[153:154], v[81:82], s[6:7], v[149:150]
	v_fma_f64 v[79:80], v[79:80], s[6:7], v[147:148]
	v_fma_f64 v[81:82], v[81:82], s[6:7], -v[149:150]
	v_fma_f64 v[147:148], v[83:84], s[0:1], -v[99:100]
	v_fma_f64 v[149:150], v[85:86], s[0:1], v[101:102]
	v_fma_f64 v[99:100], v[83:84], s[0:1], v[99:100]
	v_fma_f64 v[101:102], v[85:86], s[0:1], -v[101:102]
	v_add_f64 v[115:116], v[131:132], v[115:116]
	v_add_f64 v[131:132], v[151:152], v[155:156]
	;; [unrolled: 1-line block ×6, first 2 shown]
	v_mul_f64 v[95:96], v[137:138], s[34:35]
	v_mul_f64 v[147:148], v[137:138], s[40:41]
	;; [unrolled: 1-line block ×4, first 2 shown]
	v_add_f64 v[99:100], v[99:100], v[103:104]
	v_add_f64 v[101:102], v[101:102], v[105:106]
	;; [unrolled: 1-line block ×4, first 2 shown]
	v_fma_f64 v[151:152], v[83:84], s[30:31], -v[95:96]
	v_fma_f64 v[95:96], v[83:84], s[30:31], v[95:96]
	v_fma_f64 v[103:104], v[83:84], s[16:17], -v[147:148]
	v_fma_f64 v[105:106], v[85:86], s[16:17], v[149:150]
	v_fma_f64 v[153:154], v[85:86], s[30:31], v[97:98]
	v_fma_f64 v[97:98], v[85:86], s[30:31], -v[97:98]
	; wave barrier
	v_add_f64 v[107:108], v[151:152], v[107:108]
	v_add_f64 v[95:96], v[95:96], v[111:112]
	v_mul_f64 v[111:112], v[137:138], s[18:19]
	v_add_f64 v[103:104], v[103:104], v[119:120]
	v_add_f64 v[105:106], v[105:106], v[121:122]
	v_fma_f64 v[119:120], v[83:84], s[16:17], v[147:148]
	v_fma_f64 v[121:122], v[85:86], s[16:17], -v[149:150]
	v_mul_f64 v[147:148], v[137:138], s[26:27]
	v_mul_f64 v[149:150], v[145:146], s[26:27]
	v_add_f64 v[97:98], v[97:98], v[113:114]
	v_mul_f64 v[113:114], v[145:146], s[18:19]
	v_fma_f64 v[151:152], v[83:84], s[6:7], -v[111:112]
	v_fma_f64 v[111:112], v[83:84], s[6:7], v[111:112]
	v_add_f64 v[119:120], v[119:120], v[123:124]
	v_add_f64 v[121:122], v[121:122], v[125:126]
	v_fma_f64 v[123:124], v[83:84], s[2:3], -v[147:148]
	v_fma_f64 v[125:126], v[85:86], s[2:3], v[149:150]
	v_add_f64 v[109:110], v[153:154], v[109:110]
	v_fma_f64 v[153:154], v[85:86], s[6:7], v[113:114]
	v_fma_f64 v[113:114], v[85:86], s[6:7], -v[113:114]
	v_add_f64 v[111:112], v[111:112], v[127:128]
	v_mul_f64 v[127:128], v[137:138], s[24:25]
	v_fma_f64 v[137:138], v[83:84], s[2:3], v[147:148]
	v_add_f64 v[123:124], v[123:124], v[135:136]
	v_add_f64 v[125:126], v[125:126], v[133:134]
	v_add_f64 v[133:134], v[89:90], -v[93:94]
	v_add_f64 v[135:136], v[87:88], -v[91:92]
	v_add_f64 v[113:114], v[113:114], v[129:130]
	v_mul_f64 v[129:130], v[145:146], s[24:25]
	v_fma_f64 v[147:148], v[83:84], s[22:23], -v[127:128]
	v_add_f64 v[87:88], v[87:88], v[91:92]
	v_add_f64 v[89:90], v[89:90], v[93:94]
	v_fma_f64 v[145:146], v[85:86], s[2:3], -v[149:150]
	v_mul_f64 v[91:92], v[133:134], s[20:21]
	v_mul_f64 v[93:94], v[135:136], s[20:21]
	v_fma_f64 v[83:84], v[83:84], s[22:23], v[127:128]
	v_fma_f64 v[149:150], v[85:86], s[22:23], v[129:130]
	v_fma_f64 v[85:86], v[85:86], s[22:23], -v[129:130]
	v_add_f64 v[115:116], v[137:138], v[115:116]
	v_add_f64 v[127:128], v[147:148], v[131:132]
	;; [unrolled: 1-line block ×3, first 2 shown]
	v_fma_f64 v[131:132], v[87:88], s[16:17], -v[91:92]
	v_fma_f64 v[137:138], v[89:90], s[16:17], v[93:94]
	v_add_f64 v[75:76], v[83:84], v[75:76]
	v_mul_f64 v[83:84], v[133:134], s[38:39]
	v_add_f64 v[77:78], v[85:86], v[77:78]
	v_mul_f64 v[85:86], v[135:136], s[38:39]
	v_fma_f64 v[91:92], v[87:88], s[16:17], v[91:92]
	v_fma_f64 v[93:94], v[89:90], s[16:17], -v[93:94]
	v_add_f64 v[79:80], v[131:132], v[79:80]
	v_add_f64 v[81:82], v[137:138], v[81:82]
	v_mul_f64 v[131:132], v[133:134], s[18:19]
	v_mul_f64 v[137:138], v[135:136], s[18:19]
	v_add_f64 v[129:130], v[149:150], v[141:142]
	v_fma_f64 v[141:142], v[87:88], s[22:23], -v[83:84]
	v_fma_f64 v[145:146], v[89:90], s[22:23], v[85:86]
	v_add_f64 v[91:92], v[91:92], v[99:100]
	v_add_f64 v[93:94], v[93:94], v[101:102]
	v_fma_f64 v[83:84], v[87:88], s[22:23], v[83:84]
	v_fma_f64 v[85:86], v[89:90], s[22:23], -v[85:86]
	v_fma_f64 v[99:100], v[87:88], s[6:7], -v[131:132]
	v_fma_f64 v[101:102], v[89:90], s[6:7], v[137:138]
	s_mov_b32 s39, 0x3fcea1e5
	s_mov_b32 s38, s34
	v_add_f64 v[107:108], v[141:142], v[107:108]
	v_mul_f64 v[141:142], v[133:134], s[36:37]
	v_add_f64 v[83:84], v[83:84], v[95:96]
	v_add_f64 v[85:86], v[85:86], v[97:98]
	;; [unrolled: 1-line block ×4, first 2 shown]
	v_fma_f64 v[99:100], v[87:88], s[6:7], v[131:132]
	v_fma_f64 v[101:102], v[89:90], s[6:7], -v[137:138]
	v_mul_f64 v[131:132], v[133:134], s[38:39]
	v_mul_f64 v[137:138], v[135:136], s[38:39]
	v_add_f64 v[109:110], v[145:146], v[109:110]
	v_mul_f64 v[145:146], v[135:136], s[36:37]
	s_mov_b32 s37, 0x3fea55e2
	s_mov_b32 s36, s26
	v_add_f64 v[99:100], v[99:100], v[119:120]
	v_add_f64 v[101:102], v[101:102], v[121:122]
	v_fma_f64 v[119:120], v[87:88], s[30:31], -v[131:132]
	v_fma_f64 v[121:122], v[89:90], s[30:31], v[137:138]
	v_add_f64 v[139:140], v[151:152], v[139:140]
	v_fma_f64 v[103:104], v[87:88], s[0:1], -v[141:142]
	v_fma_f64 v[141:142], v[87:88], s[0:1], v[141:142]
	v_mul_f64 v[133:134], v[133:134], s[36:37]
	v_mul_f64 v[135:136], v[135:136], s[36:37]
	v_fma_f64 v[131:132], v[87:88], s[30:31], v[131:132]
	v_add_f64 v[119:120], v[119:120], v[123:124]
	v_add_f64 v[121:122], v[121:122], v[125:126]
	v_add_f64 v[123:124], v[67:68], -v[71:72]
	v_add_f64 v[125:126], v[65:66], -v[69:70]
	v_add_f64 v[65:66], v[65:66], v[69:70]
	v_add_f64 v[67:68], v[67:68], v[71:72]
	v_fma_f64 v[105:106], v[89:90], s[0:1], v[145:146]
	v_fma_f64 v[145:146], v[89:90], s[0:1], -v[145:146]
	v_add_f64 v[103:104], v[103:104], v[139:140]
	v_add_f64 v[111:112], v[141:142], v[111:112]
	v_mul_f64 v[69:70], v[123:124], s[24:25]
	v_mul_f64 v[71:72], v[125:126], s[24:25]
	v_fma_f64 v[137:138], v[89:90], s[30:31], -v[137:138]
	v_fma_f64 v[139:140], v[87:88], s[2:3], -v[133:134]
	v_fma_f64 v[141:142], v[89:90], s[2:3], v[135:136]
	v_fma_f64 v[87:88], v[87:88], s[2:3], v[133:134]
	v_fma_f64 v[89:90], v[89:90], s[2:3], -v[135:136]
	v_add_f64 v[115:116], v[131:132], v[115:116]
	v_fma_f64 v[131:132], v[65:66], s[22:23], -v[69:70]
	v_fma_f64 v[133:134], v[67:68], s[22:23], v[71:72]
	v_fma_f64 v[69:70], v[65:66], s[22:23], v[69:70]
	v_fma_f64 v[71:72], v[67:68], s[22:23], -v[71:72]
	v_add_f64 v[117:118], v[137:138], v[117:118]
	v_add_f64 v[75:76], v[87:88], v[75:76]
	;; [unrolled: 1-line block ×3, first 2 shown]
	v_mul_f64 v[87:88], v[123:124], s[28:29]
	v_mul_f64 v[89:90], v[125:126], s[28:29]
	v_add_f64 v[79:80], v[131:132], v[79:80]
	v_add_f64 v[81:82], v[133:134], v[81:82]
	v_mul_f64 v[131:132], v[123:124], s[26:27]
	v_mul_f64 v[133:134], v[125:126], s[26:27]
	v_add_f64 v[69:70], v[69:70], v[91:92]
	v_add_f64 v[71:72], v[71:72], v[93:94]
	v_fma_f64 v[135:136], v[65:66], s[0:1], -v[87:88]
	v_fma_f64 v[137:138], v[67:68], s[0:1], v[89:90]
	v_fma_f64 v[87:88], v[65:66], s[0:1], v[87:88]
	v_fma_f64 v[89:90], v[67:68], s[0:1], -v[89:90]
	v_fma_f64 v[91:92], v[65:66], s[2:3], -v[131:132]
	v_fma_f64 v[93:94], v[67:68], s[2:3], v[133:134]
	v_add_f64 v[143:144], v[153:154], v[143:144]
	v_add_f64 v[113:114], v[145:146], v[113:114]
	;; [unrolled: 1-line block ×8, first 2 shown]
	v_fma_f64 v[91:92], v[65:66], s[2:3], v[131:132]
	v_fma_f64 v[93:94], v[67:68], s[2:3], -v[133:134]
	v_mul_f64 v[131:132], v[123:124], s[18:19]
	v_mul_f64 v[133:134], v[125:126], s[18:19]
	v_mul_f64 v[135:136], v[123:124], s[38:39]
	v_mul_f64 v[137:138], v[125:126], s[38:39]
	v_add_f64 v[105:106], v[105:106], v[143:144]
	v_mul_f64 v[123:124], v[123:124], s[20:21]
	v_add_f64 v[91:92], v[91:92], v[99:100]
	v_add_f64 v[93:94], v[93:94], v[101:102]
	v_fma_f64 v[99:100], v[65:66], s[6:7], -v[131:132]
	v_fma_f64 v[101:102], v[67:68], s[6:7], v[133:134]
	v_fma_f64 v[95:96], v[65:66], s[30:31], -v[135:136]
	v_fma_f64 v[97:98], v[67:68], s[30:31], v[137:138]
	v_fma_f64 v[135:136], v[65:66], s[30:31], v[135:136]
	v_fma_f64 v[137:138], v[67:68], s[30:31], -v[137:138]
	v_mul_f64 v[125:126], v[125:126], s[20:21]
	v_add_f64 v[127:128], v[139:140], v[127:128]
	v_add_f64 v[99:100], v[99:100], v[119:120]
	;; [unrolled: 1-line block ×3, first 2 shown]
	v_add_f64 v[119:120], v[59:60], -v[63:64]
	v_add_f64 v[121:122], v[57:58], -v[61:62]
	v_add_f64 v[95:96], v[95:96], v[103:104]
	v_add_f64 v[97:98], v[97:98], v[105:106]
	;; [unrolled: 1-line block ×4, first 2 shown]
	v_fma_f64 v[111:112], v[65:66], s[6:7], v[131:132]
	v_fma_f64 v[113:114], v[67:68], s[6:7], -v[133:134]
	v_add_f64 v[131:132], v[57:58], v[61:62]
	v_add_f64 v[133:134], v[59:60], v[63:64]
	v_mul_f64 v[57:58], v[119:120], s[34:35]
	v_mul_f64 v[59:60], v[121:122], s[34:35]
	v_add_f64 v[129:130], v[141:142], v[129:130]
	v_fma_f64 v[61:62], v[65:66], s[16:17], v[123:124]
	v_add_f64 v[111:112], v[111:112], v[115:116]
	v_add_f64 v[113:114], v[113:114], v[117:118]
	v_fma_f64 v[115:116], v[65:66], s[16:17], -v[123:124]
	v_fma_f64 v[117:118], v[67:68], s[16:17], v[125:126]
	v_fma_f64 v[63:64], v[67:68], s[16:17], -v[125:126]
	v_mul_f64 v[123:124], v[119:120], s[18:19]
	v_mul_f64 v[125:126], v[121:122], s[18:19]
	v_fma_f64 v[65:66], v[131:132], s[30:31], -v[57:58]
	v_fma_f64 v[67:68], v[133:134], s[30:31], v[59:60]
	v_add_f64 v[115:116], v[115:116], v[127:128]
	v_add_f64 v[117:118], v[117:118], v[129:130]
	;; [unrolled: 1-line block ×4, first 2 shown]
	v_fma_f64 v[61:62], v[131:132], s[30:31], v[57:58]
	v_fma_f64 v[63:64], v[133:134], s[30:31], -v[59:60]
	v_fma_f64 v[75:76], v[131:132], s[6:7], -v[123:124]
	v_fma_f64 v[77:78], v[133:134], s[6:7], v[125:126]
	v_add_f64 v[57:58], v[65:66], v[79:80]
	v_add_f64 v[59:60], v[67:68], v[81:82]
	v_mul_f64 v[79:80], v[119:120], s[24:25]
	v_mul_f64 v[81:82], v[121:122], s[24:25]
	v_add_f64 v[61:62], v[61:62], v[69:70]
	v_add_f64 v[63:64], v[63:64], v[71:72]
	;; [unrolled: 1-line block ×4, first 2 shown]
	v_fma_f64 v[69:70], v[131:132], s[6:7], v[123:124]
	v_fma_f64 v[71:72], v[133:134], s[6:7], -v[125:126]
	v_mul_f64 v[107:108], v[119:120], s[36:37]
	v_mul_f64 v[109:110], v[121:122], s[36:37]
	v_fma_f64 v[75:76], v[131:132], s[22:23], -v[79:80]
	v_fma_f64 v[77:78], v[133:134], s[22:23], v[81:82]
	v_fma_f64 v[79:80], v[131:132], s[22:23], v[79:80]
	v_fma_f64 v[81:82], v[133:134], s[22:23], -v[81:82]
	v_add_f64 v[69:70], v[69:70], v[83:84]
	v_add_f64 v[71:72], v[71:72], v[85:86]
	v_fma_f64 v[83:84], v[131:132], s[2:3], -v[107:108]
	v_fma_f64 v[85:86], v[133:134], s[2:3], v[109:110]
	v_add_f64 v[75:76], v[75:76], v[87:88]
	v_add_f64 v[77:78], v[77:78], v[89:90]
	;; [unrolled: 1-line block ×4, first 2 shown]
	v_fma_f64 v[87:88], v[131:132], s[2:3], v[107:108]
	v_fma_f64 v[89:90], v[133:134], s[2:3], -v[109:110]
	v_mul_f64 v[91:92], v[119:120], s[20:21]
	v_mul_f64 v[93:94], v[121:122], s[20:21]
	v_add_f64 v[83:84], v[83:84], v[95:96]
	v_add_f64 v[85:86], v[85:86], v[97:98]
	v_mul_f64 v[95:96], v[119:120], s[28:29]
	v_mul_f64 v[97:98], v[121:122], s[28:29]
	v_add_f64 v[87:88], v[87:88], v[103:104]
	v_add_f64 v[89:90], v[89:90], v[105:106]
	v_fma_f64 v[103:104], v[131:132], s[16:17], -v[91:92]
	v_fma_f64 v[105:106], v[133:134], s[16:17], v[93:94]
	v_fma_f64 v[107:108], v[131:132], s[16:17], v[91:92]
	v_fma_f64 v[109:110], v[133:134], s[16:17], -v[93:94]
	v_fma_f64 v[119:120], v[131:132], s[0:1], -v[95:96]
	v_fma_f64 v[121:122], v[133:134], s[0:1], v[97:98]
	v_fma_f64 v[123:124], v[131:132], s[0:1], v[95:96]
	v_fma_f64 v[125:126], v[133:134], s[0:1], -v[97:98]
	v_add_f64 v[91:92], v[103:104], v[99:100]
	v_add_f64 v[93:94], v[105:106], v[101:102]
	;; [unrolled: 1-line block ×3, first 2 shown]
	v_mul_u32_u24_e32 v107, 13, v234
	v_add_f64 v[99:100], v[119:120], v[115:116]
	v_add_f64 v[101:102], v[121:122], v[117:118]
	;; [unrolled: 1-line block ×5, first 2 shown]
	v_add_lshl_u32 v237, v232, v107, 4
	ds_write_b128 v237, v[53:56]
	ds_write_b128 v237, v[57:60] offset:16
	ds_write_b128 v237, v[65:68] offset:32
	ds_write_b128 v237, v[75:78] offset:48
	ds_write_b128 v237, v[83:86] offset:64
	ds_write_b128 v237, v[91:94] offset:80
	ds_write_b128 v237, v[99:102] offset:96
	ds_write_b128 v237, v[103:106] offset:112
	ds_write_b128 v237, v[95:98] offset:128
	ds_write_b128 v237, v[87:90] offset:144
	ds_write_b128 v237, v[79:82] offset:160
	ds_write_b128 v237, v[69:72] offset:176
	ds_write_b128 v237, v[61:64] offset:192
	s_waitcnt lgkmcnt(0)
	; wave barrier
	s_waitcnt lgkmcnt(0)
	ds_read_b128 v[109:112], v255
	ds_read_b128 v[77:80], v0 offset:512
	ds_read_b128 v[125:128], v0 offset:3328
	;; [unrolled: 1-line block ×11, first 2 shown]
	s_mov_b64 s[0:1], 0xd0
	v_cmp_gt_u64_e32 vcc, s[0:1], v[73:74]
                                        ; implicit-def: $vgpr133_vgpr134
	s_and_saveexec_b64 s[0:1], vcc
	s_cbranch_execz .LBB0_3
; %bb.2:
	ds_read_b128 v[61:64], v0 offset:3072
	ds_read_b128 v[133:136], v0 offset:6400
.LBB0_3:
	s_or_b64 exec, exec, s[0:1]
	v_or_b32_e32 v65, 64, v234
	v_mul_lo_u16_e32 v66, 0x4f, v65
	v_lshrrev_b16_e32 v141, 10, v66
	v_mul_lo_u16_e32 v66, 13, v141
	v_or_b32_e32 v54, 32, v234
	v_sub_u16_e32 v142, v65, v66
	v_or_b32_e32 v66, 0x60, v234
	v_mul_lo_u16_e32 v53, 20, v234
	v_mul_lo_u16_e32 v55, 20, v54
	;; [unrolled: 1-line block ×3, first 2 shown]
	v_or_b32_e32 v89, 0x80, v234
	v_lshrrev_b16_e32 v137, 8, v53
	v_lshrrev_b16_e32 v139, 8, v55
	;; [unrolled: 1-line block ×3, first 2 shown]
	v_mul_lo_u16_e32 v74, 0x4f, v89
	v_mul_lo_u16_e32 v53, 13, v137
	v_mul_lo_u16_e32 v55, 13, v139
	v_mul_lo_u16_e32 v67, 13, v165
	v_lshrrev_b16_e32 v167, 10, v74
	v_sub_u16_e32 v138, v234, v53
	v_mov_b32_e32 v93, 4
	v_sub_u16_e32 v140, v54, v55
	v_sub_u16_e32 v166, v66, v67
	v_mul_lo_u16_e32 v90, 13, v167
	v_mul_lo_u16_e32 v74, 0x4f, v73
	v_lshlrev_b32_sdwa v53, v93, v138 dst_sel:DWORD dst_unused:UNUSED_PAD src0_sel:DWORD src1_sel:BYTE_0
	v_lshlrev_b32_sdwa v54, v93, v140 dst_sel:DWORD dst_unused:UNUSED_PAD src0_sel:DWORD src1_sel:BYTE_0
	;; [unrolled: 1-line block ×4, first 2 shown]
	v_lshrrev_b16_e32 v168, 10, v74
	v_sub_u16_e32 v169, v89, v90
	v_or_b32_e32 v90, 0xa0, v234
	global_load_dwordx4 v[57:60], v53, s[14:15]
	s_nop 0
	global_load_dwordx4 v[53:56], v54, s[14:15]
	s_nop 0
	;; [unrolled: 2-line block ×3, first 2 shown]
	global_load_dwordx4 v[65:68], v66, s[14:15]
	v_mul_lo_u16_e32 v74, 13, v168
	v_mul_lo_u16_e32 v91, 0x4f, v90
	v_sub_u16_e32 v73, v73, v74
	v_lshrrev_b16_e32 v170, 10, v91
	buffer_store_dword v73, off, s[48:51], 0 ; 4-byte Folded Spill
	v_lshlrev_b32_sdwa v73, v93, v73 dst_sel:DWORD dst_unused:UNUSED_PAD src0_sel:DWORD src1_sel:BYTE_0
	v_lshlrev_b32_sdwa v89, v93, v169 dst_sel:DWORD dst_unused:UNUSED_PAD src0_sel:DWORD src1_sel:BYTE_0
	v_mul_lo_u16_e32 v91, 13, v170
	global_load_dwordx4 v[73:76], v73, s[14:15]
	v_sub_u16_e32 v171, v90, v91
	global_load_dwordx4 v[89:92], v89, s[14:15]
	v_lshlrev_b32_sdwa v93, v93, v171 dst_sel:DWORD dst_unused:UNUSED_PAD src0_sel:DWORD src1_sel:BYTE_0
	global_load_dwordx4 v[93:96], v93, s[14:15]
	v_mad_legacy_u16 v137, v137, 26, v138
	v_mul_lo_u16_e32 v141, 26, v141
	v_and_b32_e32 v137, 0xff, v137
	v_mad_legacy_u16 v138, v139, 26, v140
	v_add_u32_sdwa v139, v141, v142 dst_sel:DWORD dst_unused:UNUSED_PAD src0_sel:DWORD src1_sel:BYTE_0
	v_add_lshl_u32 v174, v232, v137, 4
	v_and_b32_e32 v137, 0xff, v138
	v_add_lshl_u32 v172, v232, v139, 4
	v_add_lshl_u32 v173, v232, v137, 4
	s_waitcnt lgkmcnt(0)
	; wave barrier
	s_waitcnt lgkmcnt(0)
	buffer_store_dword v174, off, s[48:51], 0 offset:12 ; 4-byte Folded Spill
	s_waitcnt vmcnt(8)
	v_mul_f64 v[137:138], v[127:128], v[59:60]
	v_mul_f64 v[139:140], v[125:126], v[59:60]
	s_waitcnt vmcnt(7)
	v_mul_f64 v[145:146], v[107:108], v[55:56]
	v_mul_f64 v[147:148], v[105:106], v[55:56]
	;; [unrolled: 3-line block ×4, first 2 shown]
	v_fma_f64 v[125:126], v[125:126], v[57:58], -v[137:138]
	v_fma_f64 v[127:128], v[127:128], v[57:58], v[139:140]
	v_fma_f64 v[105:106], v[105:106], v[53:54], -v[145:146]
	s_waitcnt vmcnt(3)
	v_mul_f64 v[141:142], v[135:136], v[75:76]
	v_mul_f64 v[143:144], v[133:134], v[75:76]
	s_waitcnt vmcnt(2)
	v_mul_f64 v[157:158], v[131:132], v[91:92]
	v_mul_f64 v[159:160], v[129:130], v[91:92]
	;; [unrolled: 3-line block ×3, first 2 shown]
	v_fma_f64 v[107:108], v[107:108], v[53:54], v[147:148]
	v_fma_f64 v[117:118], v[117:118], v[69:70], -v[149:150]
	v_fma_f64 v[119:120], v[119:120], v[69:70], v[151:152]
	v_fma_f64 v[137:138], v[113:114], v[65:66], -v[153:154]
	;; [unrolled: 2-line block ×5, first 2 shown]
	v_fma_f64 v[123:124], v[123:124], v[93:94], v[163:164]
	v_add_f64 v[113:114], v[109:110], -v[125:126]
	v_add_f64 v[115:116], v[111:112], -v[127:128]
	;; [unrolled: 1-line block ×14, first 2 shown]
	v_fma_f64 v[141:142], v[109:110], 2.0, -v[113:114]
	v_fma_f64 v[143:144], v[111:112], 2.0, -v[115:116]
	;; [unrolled: 1-line block ×11, first 2 shown]
	v_mul_u32_u24_e32 v61, 26, v165
	v_fma_f64 v[137:138], v[101:102], 2.0, -v[133:134]
	v_fma_f64 v[139:140], v[103:104], 2.0, -v[135:136]
	v_add_u32_sdwa v61, v61, v166 dst_sel:DWORD dst_unused:UNUSED_PAD src0_sel:DWORD src1_sel:BYTE_0
	v_fma_f64 v[159:160], v[63:64], 2.0, -v[147:148]
	v_add_lshl_u32 v61, v232, v61, 4
	ds_write_b128 v174, v[113:116] offset:208
	ds_write_b128 v174, v[141:144]
	ds_write_b128 v173, v[161:164] offset:208
	buffer_store_dword v173, off, s[48:51], 0 offset:8 ; 4-byte Folded Spill
	ds_write_b128 v173, v[109:112]
	ds_write_b128 v172, v[81:84]
	ds_write_b128 v172, v[105:108] offset:208
	ds_write_b128 v61, v[121:124]
	buffer_store_dword v61, off, s[48:51], 0 offset:16 ; 4-byte Folded Spill
	ds_write_b128 v61, v[117:120] offset:208
	v_mul_u32_u24_e32 v61, 26, v167
	v_add_u32_sdwa v61, v61, v169 dst_sel:DWORD dst_unused:UNUSED_PAD src0_sel:DWORD src1_sel:BYTE_0
	v_add_lshl_u32 v61, v232, v61, 4
	ds_write_b128 v61, v[125:128]
	buffer_store_dword v61, off, s[48:51], 0 offset:20 ; 4-byte Folded Spill
	ds_write_b128 v61, v[129:132] offset:208
	v_mul_u32_u24_e32 v61, 26, v170
	v_add_u32_sdwa v61, v61, v171 dst_sel:DWORD dst_unused:UNUSED_PAD src0_sel:DWORD src1_sel:BYTE_0
	v_add_lshl_u32 v61, v232, v61, 4
	ds_write_b128 v61, v[137:140]
	buffer_store_dword v61, off, s[48:51], 0 offset:24 ; 4-byte Folded Spill
	ds_write_b128 v61, v[133:136] offset:208
	v_mul_u32_u24_e32 v61, 26, v168
	buffer_store_dword v172, off, s[48:51], 0 offset:4 ; 4-byte Folded Spill
	buffer_store_dword v61, off, s[48:51], 0 offset:28 ; 4-byte Folded Spill
	s_and_saveexec_b64 s[0:1], vcc
	s_cbranch_execz .LBB0_5
; %bb.4:
	buffer_load_dword v61, off, s[48:51], 0 ; 4-byte Folded Reload
	buffer_load_dword v62, off, s[48:51], 0 offset:28 ; 4-byte Folded Reload
	s_waitcnt vmcnt(0)
	v_add_u32_sdwa v61, v62, v61 dst_sel:DWORD dst_unused:UNUSED_PAD src0_sel:DWORD src1_sel:BYTE_0
	v_add_lshl_u32 v61, v232, v61, 4
	ds_write_b128 v61, v[157:160]
	ds_write_b128 v61, v[145:148] offset:208
.LBB0_5:
	s_or_b64 exec, exec, s[0:1]
	v_cmp_gt_u32_e64 s[0:1], 26, v234
	s_waitcnt lgkmcnt(0)
	; wave barrier
	s_waitcnt lgkmcnt(0)
                                        ; implicit-def: $vgpr149_vgpr150
                                        ; implicit-def: $vgpr153_vgpr154
	s_and_saveexec_b64 s[2:3], s[0:1]
	s_cbranch_execz .LBB0_7
; %bb.6:
	ds_read_b128 v[141:144], v255
	ds_read_b128 v[113:116], v0 offset:416
	ds_read_b128 v[109:112], v0 offset:832
	;; [unrolled: 1-line block ×15, first 2 shown]
.LBB0_7:
	s_or_b64 exec, exec, s[2:3]
	v_subrev_u32_e32 v61, 26, v234
	v_cndmask_b32_e64 v61, v61, v234, s[0:1]
	v_mul_hi_i32_i24_e32 v62, 0xf0, v61
	v_mul_i32_i24_e32 v61, 0xf0, v61
	v_add_co_u32_e64 v165, s[2:3], s14, v61
	v_mov_b32_e32 v61, s15
	v_addc_co_u32_e64 v166, s[2:3], v61, v62, s[2:3]
	global_load_dwordx4 v[61:64], v[165:166], off offset:256
	global_load_dwordx4 v[77:80], v[165:166], off offset:240
	global_load_dwordx4 v[101:104], v[165:166], off offset:224
	global_load_dwordx4 v[85:88], v[165:166], off offset:208
	s_mov_b32 s2, 0x667f3bcd
	s_mov_b32 s3, 0xbfe6a09e
	;; [unrolled: 1-line block ×12, first 2 shown]
	s_waitcnt vmcnt(0) lgkmcnt(14)
	v_mul_f64 v[97:98], v[115:116], v[87:88]
	v_fma_f64 v[167:168], v[113:114], v[85:86], -v[97:98]
	v_mul_f64 v[97:98], v[113:114], v[87:88]
	v_fma_f64 v[169:170], v[115:116], v[85:86], v[97:98]
	s_waitcnt lgkmcnt(13)
	v_mul_f64 v[97:98], v[111:112], v[103:104]
	v_fma_f64 v[171:172], v[109:110], v[101:102], -v[97:98]
	v_mul_f64 v[97:98], v[109:110], v[103:104]
	v_fma_f64 v[173:174], v[111:112], v[101:102], v[97:98]
	s_waitcnt lgkmcnt(12)
	;; [unrolled: 5-line block ×3, first 2 shown]
	v_mul_f64 v[97:98], v[83:84], v[63:64]
	v_fma_f64 v[163:164], v[81:82], v[61:62], -v[97:98]
	v_mul_f64 v[81:82], v[81:82], v[63:64]
	v_fma_f64 v[177:178], v[83:84], v[61:62], v[81:82]
	global_load_dwordx4 v[81:84], v[165:166], off offset:320
	global_load_dwordx4 v[97:100], v[165:166], off offset:304
	;; [unrolled: 1-line block ×4, first 2 shown]
	s_waitcnt vmcnt(0) lgkmcnt(10)
	v_mul_f64 v[179:180], v[107:108], v[115:116]
	v_fma_f64 v[179:180], v[105:106], v[113:114], -v[179:180]
	v_mul_f64 v[105:106], v[105:106], v[115:116]
	v_fma_f64 v[181:182], v[107:108], v[113:114], v[105:106]
	s_waitcnt lgkmcnt(9)
	v_mul_f64 v[105:106], v[123:124], v[111:112]
	v_fma_f64 v[183:184], v[121:122], v[109:110], -v[105:106]
	v_mul_f64 v[105:106], v[121:122], v[111:112]
	v_fma_f64 v[185:186], v[123:124], v[109:110], v[105:106]
	s_waitcnt lgkmcnt(8)
	;; [unrolled: 5-line block ×3, first 2 shown]
	v_mul_f64 v[105:106], v[127:128], v[83:84]
	v_fma_f64 v[191:192], v[125:126], v[81:82], -v[105:106]
	v_mul_f64 v[105:106], v[125:126], v[83:84]
	v_fma_f64 v[193:194], v[127:128], v[81:82], v[105:106]
	global_load_dwordx4 v[105:108], v[165:166], off offset:384
	global_load_dwordx4 v[117:120], v[165:166], off offset:368
	;; [unrolled: 1-line block ×4, first 2 shown]
	s_waitcnt vmcnt(0) lgkmcnt(6)
	v_mul_f64 v[195:196], v[131:132], v[127:128]
	v_fma_f64 v[195:196], v[129:130], v[125:126], -v[195:196]
	v_mul_f64 v[129:130], v[129:130], v[127:128]
	v_add_f64 v[218:219], v[167:168], -v[195:196]
	v_fma_f64 v[197:198], v[131:132], v[125:126], v[129:130]
	s_waitcnt lgkmcnt(5)
	v_mul_f64 v[129:130], v[139:140], v[123:124]
	v_add_f64 v[220:221], v[169:170], -v[197:198]
	v_fma_f64 v[199:200], v[137:138], v[121:122], -v[129:130]
	v_mul_f64 v[129:130], v[137:138], v[123:124]
	v_add_f64 v[214:215], v[171:172], -v[199:200]
	v_fma_f64 v[201:202], v[139:140], v[121:122], v[129:130]
	s_waitcnt lgkmcnt(4)
	v_mul_f64 v[129:130], v[135:136], v[119:120]
	v_add_f64 v[201:202], v[173:174], -v[201:202]
	;; [unrolled: 7-line block ×3, first 2 shown]
	v_fma_f64 v[208:209], v[157:158], v[105:106], -v[129:130]
	v_mul_f64 v[129:130], v[157:158], v[107:108]
	v_fma_f64 v[159:160], v[159:160], v[105:106], v[129:130]
	global_load_dwordx4 v[129:132], v[165:166], off offset:432
	global_load_dwordx4 v[133:136], v[165:166], off offset:416
	;; [unrolled: 1-line block ×3, first 2 shown]
	v_fma_f64 v[165:166], v[169:170], 2.0, -v[220:221]
	s_waitcnt vmcnt(0) lgkmcnt(2)
	v_mul_f64 v[157:158], v[147:148], v[139:140]
	v_fma_f64 v[210:211], v[145:146], v[137:138], -v[157:158]
	v_mul_f64 v[145:146], v[145:146], v[139:140]
	v_add_f64 v[210:211], v[179:180], -v[210:211]
	v_fma_f64 v[145:146], v[147:148], v[137:138], v[145:146]
	s_waitcnt lgkmcnt(1)
	v_mul_f64 v[147:148], v[155:156], v[135:136]
	v_fma_f64 v[179:180], v[179:180], 2.0, -v[210:211]
	v_add_f64 v[145:146], v[181:182], -v[145:146]
	v_fma_f64 v[147:148], v[153:154], v[133:134], -v[147:148]
	v_mul_f64 v[153:154], v[153:154], v[135:136]
	v_fma_f64 v[181:182], v[181:182], 2.0, -v[145:146]
	v_add_f64 v[147:148], v[183:184], -v[147:148]
	v_fma_f64 v[153:154], v[155:156], v[133:134], v[153:154]
	s_waitcnt lgkmcnt(0)
	v_mul_f64 v[155:156], v[151:152], v[131:132]
	v_add_f64 v[195:196], v[165:166], -v[181:182]
	v_fma_f64 v[183:184], v[183:184], 2.0, -v[147:148]
	v_add_f64 v[216:217], v[185:186], -v[153:154]
	v_fma_f64 v[212:213], v[149:150], v[129:130], -v[155:156]
	v_mul_f64 v[149:150], v[149:150], v[131:132]
	v_fma_f64 v[185:186], v[185:186], 2.0, -v[216:217]
	v_add_f64 v[212:213], v[187:188], -v[212:213]
	v_fma_f64 v[149:150], v[151:152], v[129:130], v[149:150]
	v_add_f64 v[151:152], v[141:142], -v[191:192]
	v_add_f64 v[191:192], v[143:144], -v[193:194]
	v_fma_f64 v[222:223], v[187:188], 2.0, -v[212:213]
	v_add_f64 v[149:150], v[189:190], -v[149:150]
	v_fma_f64 v[155:156], v[141:142], 2.0, -v[151:152]
	;; [unrolled: 2-line block ×4, first 2 shown]
	v_fma_f64 v[171:172], v[167:168], 2.0, -v[218:219]
	v_add_f64 v[187:188], v[218:219], -v[145:146]
	v_fma_f64 v[189:190], v[189:190], 2.0, -v[149:150]
	v_add_f64 v[145:146], v[203:204], -v[149:150]
	v_fma_f64 v[193:194], v[163:164], 2.0, -v[141:142]
	v_fma_f64 v[163:164], v[173:174], 2.0, -v[201:202]
	v_fma_f64 v[208:209], v[177:178], 2.0, -v[143:144]
	v_add_f64 v[169:170], v[151:152], -v[143:144]
	v_add_f64 v[143:144], v[201:202], v[147:148]
	v_fma_f64 v[177:178], v[175:176], 2.0, -v[203:204]
	v_fma_f64 v[175:176], v[161:162], 2.0, -v[206:207]
	v_add_f64 v[197:198], v[159:160], -v[183:184]
	v_add_f64 v[153:154], v[155:156], -v[193:194]
	v_add_f64 v[193:194], v[191:192], v[141:142]
	v_add_f64 v[141:142], v[214:215], -v[216:217]
	v_fma_f64 v[161:162], v[151:152], 2.0, -v[169:170]
	v_fma_f64 v[151:152], v[201:202], 2.0, -v[143:144]
	v_add_f64 v[183:184], v[171:172], -v[179:180]
	v_add_f64 v[201:202], v[220:221], v[210:211]
	v_add_f64 v[149:150], v[206:207], v[212:213]
	v_add_f64 v[199:200], v[163:164], -v[185:186]
	v_fma_f64 v[173:174], v[191:192], 2.0, -v[193:194]
	v_fma_f64 v[147:148], v[214:215], 2.0, -v[141:142]
	;; [unrolled: 1-line block ×4, first 2 shown]
	v_add_f64 v[167:168], v[157:158], -v[208:209]
	v_fma_f64 v[191:192], v[220:221], 2.0, -v[201:202]
	v_fma_f64 v[206:207], v[206:207], 2.0, -v[149:150]
	v_add_f64 v[216:217], v[177:178], -v[222:223]
	v_fma_f64 v[181:182], v[151:152], s[2:3], v[173:174]
	v_fma_f64 v[179:180], v[147:148], s[2:3], v[161:162]
	v_add_f64 v[208:209], v[175:176], -v[189:190]
	v_add_f64 v[214:215], v[167:168], v[197:198]
	v_add_f64 v[218:219], v[195:196], v[216:217]
	v_fma_f64 v[203:204], v[147:148], s[14:15], v[181:182]
	v_fma_f64 v[179:180], v[151:152], s[2:3], v[179:180]
	;; [unrolled: 1-line block ×4, first 2 shown]
	v_add_f64 v[181:182], v[153:154], -v[199:200]
	v_fma_f64 v[189:190], v[143:144], s[2:3], v[147:148]
	v_fma_f64 v[222:223], v[141:142], s[14:15], v[151:152]
	;; [unrolled: 1-line block ×8, first 2 shown]
	v_add_f64 v[210:211], v[183:184], -v[208:209]
	v_fma_f64 v[220:221], v[149:150], s[2:3], v[141:142]
	v_fma_f64 v[224:225], v[145:146], s[14:15], v[143:144]
	;; [unrolled: 1-line block ×14, first 2 shown]
	s_and_saveexec_b64 s[6:7], s[0:1]
	s_cbranch_execz .LBB0_9
; %bb.8:
	v_fma_f64 v[157:158], v[157:158], 2.0, -v[167:168]
	v_fma_f64 v[163:164], v[163:164], 2.0, -v[199:200]
	v_fma_f64 v[199:200], v[171:172], 2.0, -v[183:184]
	v_fma_f64 v[171:172], v[177:178], 2.0, -v[216:217]
	v_fma_f64 v[177:178], v[155:156], 2.0, -v[153:154]
	v_fma_f64 v[197:198], v[159:160], 2.0, -v[197:198]
	v_fma_f64 v[216:217], v[165:166], 2.0, -v[195:196]
	v_fma_f64 v[165:166], v[175:176], 2.0, -v[208:209]
	v_fma_f64 v[155:156], v[222:223], 2.0, -v[143:144]
	v_add_f64 v[208:209], v[157:158], -v[163:164]
	v_fma_f64 v[159:160], v[214:215], 2.0, -v[147:148]
	v_add_f64 v[245:246], v[199:200], -v[171:172]
	v_fma_f64 v[222:223], v[193:194], 2.0, -v[222:223]
	;; [unrolled: 2-line block ×4, first 2 shown]
	v_fma_f64 v[224:225], v[201:202], 2.0, -v[224:225]
	v_fma_f64 v[173:174], v[173:174], 2.0, -v[203:204]
	v_add_f64 v[165:166], v[208:209], v[245:246]
	v_fma_f64 v[191:192], v[191:192], 2.0, -v[212:213]
	v_fma_f64 v[197:198], v[185:186], 2.0, -v[206:207]
	;; [unrolled: 1-line block ×7, first 2 shown]
	v_fma_f64 v[201:202], v[214:215], s[2:3], v[167:168]
	v_fma_f64 v[157:158], v[157:158], 2.0, -v[208:209]
	v_fma_f64 v[206:207], v[216:217], 2.0, -v[193:194]
	;; [unrolled: 1-line block ×5, first 2 shown]
	v_fma_f64 v[195:196], v[224:225], s[22:23], v[222:223]
	v_fma_f64 v[175:176], v[208:209], 2.0, -v[165:166]
	v_fma_f64 v[203:204], v[191:192], s[18:19], v[173:174]
	v_fma_f64 v[208:209], v[197:198], s[18:19], v[161:162]
	;; [unrolled: 1-line block ×4, first 2 shown]
	v_add_f64 v[163:164], v[247:248], -v[193:194]
	v_fma_f64 v[193:194], v[183:184], s[14:15], v[201:202]
	v_add_f64 v[201:202], v[157:158], -v[206:207]
	v_add_f64 v[199:200], v[177:178], -v[199:200]
	v_fma_f64 v[185:186], v[187:188], s[20:21], v[195:196]
	v_fma_f64 v[197:198], v[197:198], s[16:17], v[203:204]
	v_fma_f64 v[195:196], v[191:192], s[22:23], v[208:209]
	v_fma_f64 v[191:192], v[214:215], s[2:3], v[210:211]
	v_fma_f64 v[183:184], v[224:225], s[18:19], v[212:213]
	v_fma_f64 v[212:213], v[167:168], 2.0, -v[193:194]
	v_fma_f64 v[220:221], v[157:158], 2.0, -v[201:202]
	;; [unrolled: 1-line block ×12, first 2 shown]
	ds_write_b128 v255, v[218:221]
	ds_write_b128 v0, v[214:217] offset:416
	ds_write_b128 v0, v[210:213] offset:832
	;; [unrolled: 1-line block ×15, first 2 shown]
.LBB0_9:
	s_or_b64 exec, exec, s[6:7]
	s_add_u32 s2, s12, 0x1a00
	s_addc_u32 s3, s13, 0
	s_waitcnt lgkmcnt(0)
	; wave barrier
	s_waitcnt lgkmcnt(0)
	global_load_dwordx4 v[157:160], v226, s[2:3]
	ds_read_b128 v[153:156], v255
	s_mov_b32 s20, 0x4267c47c
	s_mov_b32 s16, 0x42a4c3d2
	;; [unrolled: 1-line block ×33, first 2 shown]
	s_waitcnt vmcnt(0) lgkmcnt(0)
	v_mul_f64 v[161:162], v[155:156], v[159:160]
	v_fma_f64 v[161:162], v[153:154], v[157:158], -v[161:162]
	v_mul_f64 v[153:154], v[153:154], v[159:160]
	v_fma_f64 v[163:164], v[155:156], v[157:158], v[153:154]
	global_load_dwordx4 v[157:160], v226, s[2:3] offset:512
	ds_write_b128 v255, v[161:164]
	ds_read_b128 v[153:156], v0 offset:512
	s_waitcnt vmcnt(0) lgkmcnt(0)
	v_mul_f64 v[161:162], v[155:156], v[159:160]
	v_fma_f64 v[161:162], v[153:154], v[157:158], -v[161:162]
	v_mul_f64 v[153:154], v[153:154], v[159:160]
	v_fma_f64 v[163:164], v[155:156], v[157:158], v[153:154]
	global_load_dwordx4 v[157:160], v226, s[2:3] offset:1024
	ds_read_b128 v[153:156], v0 offset:1024
	ds_write_b128 v0, v[161:164] offset:512
	s_waitcnt vmcnt(0) lgkmcnt(1)
	v_mul_f64 v[161:162], v[155:156], v[159:160]
	v_fma_f64 v[161:162], v[153:154], v[157:158], -v[161:162]
	v_mul_f64 v[153:154], v[153:154], v[159:160]
	v_fma_f64 v[163:164], v[155:156], v[157:158], v[153:154]
	global_load_dwordx4 v[157:160], v226, s[2:3] offset:1536
	ds_read_b128 v[153:156], v0 offset:1536
	ds_write_b128 v0, v[161:164] offset:1024
	;; [unrolled: 8-line block ×4, first 2 shown]
	s_waitcnt vmcnt(0) lgkmcnt(1)
	v_mul_f64 v[161:162], v[155:156], v[159:160]
	v_fma_f64 v[161:162], v[153:154], v[157:158], -v[161:162]
	v_mul_f64 v[153:154], v[153:154], v[159:160]
	v_fma_f64 v[163:164], v[155:156], v[157:158], v[153:154]
	global_load_dwordx4 v[157:160], v226, s[2:3] offset:3072
	v_lshlrev_b32_e32 v153, 4, v232
	v_add_u32_e32 v246, v153, v226
	buffer_store_dword v153, off, s[48:51], 0 offset:48 ; 4-byte Folded Spill
	ds_read_b128 v[153:156], v246 offset:3072
	ds_write_b128 v0, v[161:164] offset:2560
	s_waitcnt vmcnt(1) lgkmcnt(1)
	v_mul_f64 v[161:162], v[155:156], v[159:160]
	v_fma_f64 v[161:162], v[153:154], v[157:158], -v[161:162]
	v_mul_f64 v[153:154], v[153:154], v[159:160]
	v_fma_f64 v[163:164], v[155:156], v[157:158], v[153:154]
	global_load_dwordx4 v[157:160], v226, s[2:3] offset:3584
	ds_read_b128 v[153:156], v0 offset:3584
	ds_write_b128 v246, v[161:164] offset:3072
	s_waitcnt vmcnt(0) lgkmcnt(1)
	v_mul_f64 v[161:162], v[155:156], v[159:160]
	v_fma_f64 v[161:162], v[153:154], v[157:158], -v[161:162]
	v_mul_f64 v[153:154], v[153:154], v[159:160]
	v_fma_f64 v[163:164], v[155:156], v[157:158], v[153:154]
	global_load_dwordx4 v[157:160], v231, s[2:3]
	ds_read_b128 v[153:156], v0 offset:4096
	ds_write_b128 v0, v[161:164] offset:3584
	s_waitcnt vmcnt(0) lgkmcnt(1)
	v_mul_f64 v[161:162], v[155:156], v[159:160]
	v_fma_f64 v[161:162], v[153:154], v[157:158], -v[161:162]
	v_mul_f64 v[153:154], v[153:154], v[159:160]
	v_fma_f64 v[163:164], v[155:156], v[157:158], v[153:154]
	global_load_dwordx4 v[157:160], v230, s[2:3]
	;; [unrolled: 8-line block ×5, first 2 shown]
	ds_read_b128 v[153:156], v0 offset:6144
	s_mov_b32 s2, 0x66966769
	s_mov_b32 s3, 0xbfefc445
	;; [unrolled: 1-line block ×3, first 2 shown]
	ds_write_b128 v0, v[161:164] offset:5632
	s_waitcnt vmcnt(0) lgkmcnt(1)
	v_mul_f64 v[161:162], v[155:156], v[159:160]
	v_fma_f64 v[161:162], v[153:154], v[157:158], -v[161:162]
	v_mul_f64 v[153:154], v[153:154], v[159:160]
	v_fma_f64 v[163:164], v[155:156], v[157:158], v[153:154]
	ds_write_b128 v0, v[161:164] offset:6144
	s_waitcnt lgkmcnt(0)
	; wave barrier
	s_waitcnt lgkmcnt(0)
	ds_read_b128 v[197:200], v255
	ds_read_b128 v[208:211], v0 offset:512
	ds_read_b128 v[189:192], v0 offset:1024
	;; [unrolled: 1-line block ×12, first 2 shown]
	s_waitcnt lgkmcnt(11)
	v_add_f64 v[153:154], v[197:198], v[208:209]
	v_add_f64 v[155:156], v[199:200], v[210:211]
	s_waitcnt lgkmcnt(0)
	v_add_f64 v[201:202], v[208:209], v[212:213]
	v_add_f64 v[203:204], v[208:209], -v[212:213]
	v_add_f64 v[208:209], v[210:211], -v[214:215]
	v_add_f64 v[206:207], v[210:211], v[214:215]
	v_add_f64 v[153:154], v[153:154], v[189:190]
	;; [unrolled: 1-line block ×3, first 2 shown]
	v_mul_f64 v[222:223], v[208:209], s[16:17]
	v_mul_f64 v[228:229], v[208:209], s[2:3]
	v_add_f64 v[153:154], v[153:154], v[181:182]
	v_add_f64 v[155:156], v[155:156], v[183:184]
	v_mul_f64 v[247:248], v[208:209], s[24:25]
	v_mul_f64 v[238:239], v[208:209], s[34:35]
	;; [unrolled: 1-line block ×4, first 2 shown]
	v_fma_f64 v[218:219], v[201:202], s[14:15], v[222:223]
	v_fma_f64 v[222:223], v[201:202], s[14:15], -v[222:223]
	v_add_f64 v[153:154], v[153:154], v[173:174]
	v_add_f64 v[155:156], v[155:156], v[175:176]
	v_fma_f64 v[226:227], v[201:202], s[6:7], v[228:229]
	v_fma_f64 v[228:229], v[201:202], s[6:7], -v[228:229]
	v_fma_f64 v[249:250], v[201:202], s[28:29], v[247:248]
	v_mul_f64 v[251:252], v[206:207], s[28:29]
	v_fma_f64 v[247:248], v[201:202], s[28:29], -v[247:248]
	v_fma_f64 v[240:241], v[201:202], s[36:37], v[238:239]
	v_add_f64 v[153:154], v[153:154], v[165:166]
	v_add_f64 v[155:156], v[155:156], v[167:168]
	v_mul_f64 v[242:243], v[206:207], s[36:37]
	v_fma_f64 v[238:239], v[201:202], s[36:37], -v[238:239]
	v_add_f64 v[218:219], v[197:198], v[218:219]
	v_fma_f64 v[220:221], v[203:204], s[18:19], v[224:225]
	v_add_f64 v[222:223], v[197:198], v[222:223]
	v_fma_f64 v[224:225], v[203:204], s[16:17], v[224:225]
	v_add_f64 v[153:154], v[153:154], v[157:158]
	v_add_f64 v[155:156], v[155:156], v[159:160]
	;; [unrolled: 1-line block ×3, first 2 shown]
	v_fma_f64 v[226:227], v[203:204], s[12:13], v[230:231]
	v_add_f64 v[228:229], v[197:198], v[228:229]
	v_fma_f64 v[230:231], v[203:204], s[2:3], v[230:231]
	v_add_f64 v[249:250], v[197:198], v[249:250]
	;; [unrolled: 2-line block ×3, first 2 shown]
	v_add_f64 v[155:156], v[155:156], v[163:164]
	v_add_f64 v[247:248], v[197:198], v[247:248]
	v_fma_f64 v[251:252], v[203:204], s[24:25], v[251:252]
	v_add_f64 v[240:241], v[197:198], v[240:241]
	v_fma_f64 v[244:245], v[203:204], s[38:39], v[242:243]
	;; [unrolled: 2-line block ×3, first 2 shown]
	v_add_f64 v[153:154], v[153:154], v[169:170]
	v_add_f64 v[155:156], v[155:156], v[171:172]
	v_add_f64 v[220:221], v[199:200], v[220:221]
	v_add_f64 v[224:225], v[199:200], v[224:225]
	v_add_f64 v[226:227], v[199:200], v[226:227]
	v_add_f64 v[230:231], v[199:200], v[230:231]
	v_add_f64 v[253:254], v[199:200], v[253:254]
	v_add_f64 v[251:252], v[199:200], v[251:252]
	v_add_f64 v[153:154], v[153:154], v[177:178]
	v_add_f64 v[155:156], v[155:156], v[179:180]
	v_add_f64 v[244:245], v[199:200], v[244:245]
	v_add_f64 v[242:243], v[199:200], v[242:243]
	v_add_f64 v[153:154], v[153:154], v[185:186]
	v_add_f64 v[155:156], v[155:156], v[187:188]
	v_add_f64 v[153:154], v[153:154], v[193:194]
	v_add_f64 v[155:156], v[155:156], v[195:196]
	v_add_f64 v[153:154], v[153:154], v[212:213]
	v_add_f64 v[155:156], v[155:156], v[214:215]
	v_mul_f64 v[212:213], v[208:209], s[20:21]
	v_mul_f64 v[208:209], v[208:209], s[40:41]
	buffer_store_dword v153, off, s[48:51], 0 offset:32 ; 4-byte Folded Spill
	s_nop 0
	buffer_store_dword v154, off, s[48:51], 0 offset:36 ; 4-byte Folded Spill
	buffer_store_dword v155, off, s[48:51], 0 offset:40 ; 4-byte Folded Spill
	;; [unrolled: 1-line block ×3, first 2 shown]
	v_fma_f64 v[210:211], v[201:202], s[22:23], v[212:213]
	v_mul_f64 v[214:215], v[206:207], s[22:23]
	v_fma_f64 v[212:213], v[201:202], s[22:23], -v[212:213]
	v_fma_f64 v[235:236], v[201:202], s[42:43], v[208:209]
	v_mul_f64 v[206:207], v[206:207], s[42:43]
	v_fma_f64 v[155:156], v[201:202], s[42:43], -v[208:209]
	v_add_f64 v[201:202], v[191:192], v[195:196]
	v_add_f64 v[191:192], v[191:192], -v[195:196]
	v_add_f64 v[216:217], v[197:198], v[210:211]
	v_fma_f64 v[210:211], v[203:204], s[26:27], v[214:215]
	v_add_f64 v[212:213], v[197:198], v[212:213]
	v_fma_f64 v[214:215], v[203:204], s[20:21], v[214:215]
	;; [unrolled: 2-line block ×4, first 2 shown]
	v_mul_f64 v[203:204], v[201:202], s[14:15]
	v_add_f64 v[210:211], v[199:200], v[210:211]
	v_mul_f64 v[208:209], v[191:192], s[24:25]
	v_add_f64 v[214:215], v[199:200], v[214:215]
	v_add_f64 v[153:154], v[199:200], v[153:154]
	; wave barrier
	v_add_f64 v[197:198], v[199:200], v[197:198]
	v_add_f64 v[199:200], v[189:190], v[193:194]
	v_add_f64 v[189:190], v[189:190], -v[193:194]
	v_mul_f64 v[193:194], v[191:192], s[16:17]
	v_fma_f64 v[206:207], v[189:190], s[18:19], v[203:204]
	v_fma_f64 v[195:196], v[199:200], s[14:15], v[193:194]
	v_fma_f64 v[193:194], v[199:200], s[14:15], -v[193:194]
	v_fma_f64 v[203:204], v[189:190], s[16:17], v[203:204]
	v_add_f64 v[206:207], v[206:207], v[210:211]
	v_add_f64 v[195:196], v[195:196], v[216:217]
	;; [unrolled: 1-line block ×3, first 2 shown]
	v_mul_f64 v[212:213], v[201:202], s[28:29]
	v_add_f64 v[203:204], v[203:204], v[214:215]
	v_fma_f64 v[210:211], v[199:200], s[28:29], v[208:209]
	v_fma_f64 v[208:209], v[199:200], s[28:29], -v[208:209]
	v_mul_f64 v[216:217], v[191:192], s[40:41]
	v_fma_f64 v[214:215], v[189:190], s[30:31], v[212:213]
	v_fma_f64 v[212:213], v[189:190], s[24:25], v[212:213]
	v_add_f64 v[210:211], v[210:211], v[218:219]
	v_add_f64 v[208:209], v[208:209], v[222:223]
	v_fma_f64 v[218:219], v[199:200], s[42:43], v[216:217]
	v_fma_f64 v[216:217], v[199:200], s[42:43], -v[216:217]
	v_add_f64 v[214:215], v[214:215], v[220:221]
	v_mul_f64 v[220:221], v[201:202], s[42:43]
	v_add_f64 v[212:213], v[212:213], v[224:225]
	v_mul_f64 v[224:225], v[191:192], s[38:39]
	;; [unrolled: 2-line block ×3, first 2 shown]
	v_mul_f64 v[191:192], v[191:192], s[26:27]
	v_add_f64 v[216:217], v[216:217], v[228:229]
	v_mul_f64 v[228:229], v[201:202], s[36:37]
	v_fma_f64 v[222:223], v[189:190], s[44:45], v[220:221]
	v_fma_f64 v[220:221], v[189:190], s[40:41], v[220:221]
	v_add_f64 v[222:223], v[222:223], v[226:227]
	v_fma_f64 v[226:227], v[199:200], s[36:37], v[224:225]
	v_fma_f64 v[224:225], v[199:200], s[36:37], -v[224:225]
	v_add_f64 v[220:221], v[220:221], v[230:231]
	v_fma_f64 v[230:231], v[189:190], s[34:35], v[228:229]
	v_fma_f64 v[228:229], v[189:190], s[38:39], v[228:229]
	v_add_f64 v[226:227], v[226:227], v[249:250]
	v_add_f64 v[224:225], v[224:225], v[247:248]
	v_fma_f64 v[247:248], v[199:200], s[6:7], v[232:233]
	v_fma_f64 v[232:233], v[199:200], s[6:7], -v[232:233]
	v_add_f64 v[228:229], v[228:229], v[251:252]
	v_add_f64 v[230:231], v[230:231], v[253:254]
	;; [unrolled: 1-line block ×3, first 2 shown]
	v_mul_f64 v[247:248], v[201:202], s[6:7]
	v_add_f64 v[232:233], v[232:233], v[238:239]
	v_mul_f64 v[201:202], v[201:202], s[22:23]
	v_fma_f64 v[238:239], v[189:190], s[12:13], v[247:248]
	v_fma_f64 v[249:250], v[189:190], s[2:3], v[247:248]
	v_add_f64 v[238:239], v[238:239], v[242:243]
	v_fma_f64 v[242:243], v[199:200], s[22:23], v[191:192]
	v_fma_f64 v[191:192], v[199:200], s[22:23], -v[191:192]
	v_add_f64 v[244:245], v[249:250], v[244:245]
	v_add_f64 v[235:236], v[242:243], v[235:236]
	v_fma_f64 v[242:243], v[189:190], s[20:21], v[201:202]
	v_fma_f64 v[189:190], v[189:190], s[26:27], v[201:202]
	v_add_f64 v[155:156], v[191:192], v[155:156]
	v_add_f64 v[191:192], v[181:182], v[185:186]
	v_add_f64 v[181:182], v[181:182], -v[185:186]
	v_add_f64 v[153:154], v[242:243], v[153:154]
	v_add_f64 v[189:190], v[189:190], v[197:198]
	;; [unrolled: 1-line block ×3, first 2 shown]
	v_add_f64 v[183:184], v[183:184], -v[187:188]
	v_mul_f64 v[185:186], v[183:184], s[2:3]
	v_fma_f64 v[187:188], v[191:192], s[6:7], v[185:186]
	v_fma_f64 v[185:186], v[191:192], s[6:7], -v[185:186]
	v_add_f64 v[187:188], v[187:188], v[195:196]
	v_mul_f64 v[195:196], v[197:198], s[6:7]
	v_add_f64 v[185:186], v[185:186], v[193:194]
	v_fma_f64 v[199:200], v[181:182], s[12:13], v[195:196]
	v_fma_f64 v[193:194], v[181:182], s[2:3], v[195:196]
	v_mul_f64 v[195:196], v[183:184], s[40:41]
	v_add_f64 v[199:200], v[199:200], v[206:207]
	v_add_f64 v[193:194], v[193:194], v[203:204]
	v_fma_f64 v[201:202], v[191:192], s[42:43], v[195:196]
	v_fma_f64 v[195:196], v[191:192], s[42:43], -v[195:196]
	v_mul_f64 v[203:204], v[197:198], s[42:43]
	v_add_f64 v[201:202], v[201:202], v[210:211]
	v_add_f64 v[195:196], v[195:196], v[208:209]
	v_mul_f64 v[208:209], v[183:184], s[30:31]
	v_fma_f64 v[206:207], v[181:182], s[44:45], v[203:204]
	v_fma_f64 v[203:204], v[181:182], s[40:41], v[203:204]
	;; [unrolled: 1-line block ×3, first 2 shown]
	v_fma_f64 v[208:209], v[191:192], s[28:29], -v[208:209]
	v_add_f64 v[203:204], v[203:204], v[212:213]
	v_mul_f64 v[212:213], v[197:198], s[28:29]
	v_add_f64 v[206:207], v[206:207], v[214:215]
	v_add_f64 v[210:211], v[210:211], v[218:219]
	v_add_f64 v[208:209], v[208:209], v[216:217]
	v_mul_f64 v[216:217], v[183:184], s[26:27]
	v_fma_f64 v[214:215], v[181:182], s[24:25], v[212:213]
	v_fma_f64 v[212:213], v[181:182], s[30:31], v[212:213]
	;; [unrolled: 1-line block ×3, first 2 shown]
	v_fma_f64 v[216:217], v[191:192], s[22:23], -v[216:217]
	v_add_f64 v[212:213], v[212:213], v[220:221]
	v_mul_f64 v[220:221], v[197:198], s[22:23]
	v_add_f64 v[214:215], v[214:215], v[222:223]
	v_add_f64 v[218:219], v[218:219], v[226:227]
	;; [unrolled: 1-line block ×3, first 2 shown]
	v_mul_f64 v[224:225], v[183:184], s[16:17]
	v_fma_f64 v[222:223], v[181:182], s[20:21], v[220:221]
	v_fma_f64 v[220:221], v[181:182], s[26:27], v[220:221]
	v_mul_f64 v[183:184], v[183:184], s[34:35]
	v_fma_f64 v[226:227], v[191:192], s[14:15], v[224:225]
	v_fma_f64 v[224:225], v[191:192], s[14:15], -v[224:225]
	v_add_f64 v[220:221], v[220:221], v[228:229]
	v_mul_f64 v[228:229], v[197:198], s[14:15]
	v_mul_f64 v[197:198], v[197:198], s[36:37]
	v_add_f64 v[222:223], v[222:223], v[230:231]
	v_add_f64 v[226:227], v[226:227], v[240:241]
	;; [unrolled: 1-line block ×3, first 2 shown]
	v_fma_f64 v[232:233], v[191:192], s[36:37], v[183:184]
	v_fma_f64 v[230:231], v[181:182], s[18:19], v[228:229]
	;; [unrolled: 1-line block ×3, first 2 shown]
	v_fma_f64 v[183:184], v[191:192], s[36:37], -v[183:184]
	v_add_f64 v[232:233], v[232:233], v[235:236]
	v_fma_f64 v[235:236], v[181:182], s[38:39], v[197:198]
	v_fma_f64 v[181:182], v[181:182], s[34:35], v[197:198]
	v_add_f64 v[155:156], v[183:184], v[155:156]
	v_add_f64 v[183:184], v[173:174], v[177:178]
	v_add_f64 v[173:174], v[173:174], -v[177:178]
	v_add_f64 v[228:229], v[228:229], v[238:239]
	v_add_f64 v[230:231], v[230:231], v[244:245]
	;; [unrolled: 1-line block ×5, first 2 shown]
	v_add_f64 v[175:176], v[175:176], -v[179:180]
	v_mul_f64 v[197:198], v[189:190], s[36:37]
	v_mul_f64 v[177:178], v[175:176], s[24:25]
	v_fma_f64 v[179:180], v[183:184], s[28:29], v[177:178]
	v_fma_f64 v[177:178], v[183:184], s[28:29], -v[177:178]
	v_add_f64 v[179:180], v[179:180], v[187:188]
	v_mul_f64 v[187:188], v[189:190], s[28:29]
	v_add_f64 v[177:178], v[177:178], v[185:186]
	v_fma_f64 v[191:192], v[173:174], s[30:31], v[187:188]
	v_fma_f64 v[185:186], v[173:174], s[24:25], v[187:188]
	v_mul_f64 v[187:188], v[175:176], s[38:39]
	v_add_f64 v[191:192], v[191:192], v[199:200]
	v_add_f64 v[185:186], v[185:186], v[193:194]
	v_fma_f64 v[193:194], v[183:184], s[36:37], v[187:188]
	v_fma_f64 v[187:188], v[183:184], s[36:37], -v[187:188]
	v_fma_f64 v[199:200], v[173:174], s[34:35], v[197:198]
	v_add_f64 v[193:194], v[193:194], v[201:202]
	v_add_f64 v[187:188], v[187:188], v[195:196]
	v_fma_f64 v[195:196], v[173:174], s[38:39], v[197:198]
	v_mul_f64 v[197:198], v[175:176], s[26:27]
	v_add_f64 v[199:200], v[199:200], v[206:207]
	v_add_f64 v[195:196], v[195:196], v[203:204]
	v_fma_f64 v[201:202], v[183:184], s[22:23], v[197:198]
	v_mul_f64 v[203:204], v[189:190], s[22:23]
	v_fma_f64 v[197:198], v[183:184], s[22:23], -v[197:198]
	v_add_f64 v[201:202], v[201:202], v[210:211]
	v_fma_f64 v[206:207], v[173:174], s[20:21], v[203:204]
	v_add_f64 v[197:198], v[197:198], v[208:209]
	v_fma_f64 v[203:204], v[173:174], s[26:27], v[203:204]
	v_mul_f64 v[208:209], v[175:176], s[2:3]
	v_add_f64 v[206:207], v[206:207], v[214:215]
	v_add_f64 v[203:204], v[203:204], v[212:213]
	v_fma_f64 v[210:211], v[183:184], s[6:7], v[208:209]
	v_mul_f64 v[212:213], v[189:190], s[6:7]
	v_fma_f64 v[208:209], v[183:184], s[6:7], -v[208:209]
	v_add_f64 v[210:211], v[210:211], v[218:219]
	v_fma_f64 v[214:215], v[173:174], s[12:13], v[212:213]
	v_add_f64 v[208:209], v[208:209], v[216:217]
	v_fma_f64 v[212:213], v[173:174], s[2:3], v[212:213]
	v_mul_f64 v[216:217], v[175:176], s[44:45]
	v_mul_f64 v[175:176], v[175:176], s[18:19]
	v_add_f64 v[214:215], v[214:215], v[222:223]
	v_add_f64 v[212:213], v[212:213], v[220:221]
	v_fma_f64 v[218:219], v[183:184], s[42:43], v[216:217]
	v_mul_f64 v[220:221], v[189:190], s[42:43]
	v_mul_f64 v[189:190], v[189:190], s[14:15]
	v_fma_f64 v[216:217], v[183:184], s[42:43], -v[216:217]
	v_add_f64 v[218:219], v[218:219], v[226:227]
	v_fma_f64 v[222:223], v[173:174], s[40:41], v[220:221]
	v_fma_f64 v[220:221], v[173:174], s[44:45], v[220:221]
	;; [unrolled: 1-line block ×4, first 2 shown]
	v_add_f64 v[216:217], v[216:217], v[224:225]
	v_fma_f64 v[224:225], v[183:184], s[14:15], v[175:176]
	v_fma_f64 v[175:176], v[183:184], s[14:15], -v[175:176]
	v_add_f64 v[222:223], v[222:223], v[230:231]
	v_add_f64 v[220:221], v[220:221], v[228:229]
	;; [unrolled: 1-line block ×5, first 2 shown]
	v_add_f64 v[167:168], v[167:168], -v[171:172]
	v_add_f64 v[155:156], v[175:176], v[155:156]
	v_add_f64 v[175:176], v[165:166], v[169:170]
	v_add_f64 v[165:166], v[165:166], -v[169:170]
	v_add_f64 v[224:225], v[224:225], v[232:233]
	v_add_f64 v[226:227], v[159:160], -v[163:164]
	v_mul_f64 v[189:190], v[181:182], s[6:7]
	v_mul_f64 v[169:170], v[167:168], s[34:35]
	v_fma_f64 v[171:172], v[175:176], s[36:37], v[169:170]
	v_fma_f64 v[169:170], v[175:176], s[36:37], -v[169:170]
	v_add_f64 v[171:172], v[171:172], v[179:180]
	v_mul_f64 v[179:180], v[181:182], s[36:37]
	v_add_f64 v[169:170], v[169:170], v[177:178]
	v_fma_f64 v[183:184], v[165:166], s[38:39], v[179:180]
	v_fma_f64 v[177:178], v[165:166], s[34:35], v[179:180]
	v_mul_f64 v[179:180], v[167:168], s[12:13]
	v_add_f64 v[183:184], v[183:184], v[191:192]
	v_add_f64 v[177:178], v[177:178], v[185:186]
	v_fma_f64 v[185:186], v[175:176], s[6:7], v[179:180]
	v_fma_f64 v[179:180], v[175:176], s[6:7], -v[179:180]
	v_fma_f64 v[191:192], v[165:166], s[2:3], v[189:190]
	v_add_f64 v[185:186], v[185:186], v[193:194]
	v_add_f64 v[179:180], v[179:180], v[187:188]
	v_fma_f64 v[187:188], v[165:166], s[12:13], v[189:190]
	v_mul_f64 v[189:190], v[167:168], s[16:17]
	v_add_f64 v[191:192], v[191:192], v[199:200]
	v_add_f64 v[187:188], v[187:188], v[195:196]
	v_fma_f64 v[193:194], v[175:176], s[14:15], v[189:190]
	v_mul_f64 v[195:196], v[181:182], s[14:15]
	v_fma_f64 v[189:190], v[175:176], s[14:15], -v[189:190]
	v_add_f64 v[193:194], v[193:194], v[201:202]
	v_fma_f64 v[199:200], v[165:166], s[18:19], v[195:196]
	v_add_f64 v[189:190], v[189:190], v[197:198]
	v_fma_f64 v[195:196], v[165:166], s[16:17], v[195:196]
	v_mul_f64 v[197:198], v[167:168], s[44:45]
	v_add_f64 v[199:200], v[199:200], v[206:207]
	v_add_f64 v[195:196], v[195:196], v[203:204]
	v_fma_f64 v[201:202], v[175:176], s[42:43], v[197:198]
	v_mul_f64 v[203:204], v[181:182], s[42:43]
	v_fma_f64 v[197:198], v[175:176], s[42:43], -v[197:198]
	v_add_f64 v[201:202], v[201:202], v[210:211]
	v_fma_f64 v[206:207], v[165:166], s[40:41], v[203:204]
	v_add_f64 v[197:198], v[197:198], v[208:209]
	v_fma_f64 v[203:204], v[165:166], s[44:45], v[203:204]
	v_mul_f64 v[208:209], v[167:168], s[26:27]
	v_mul_f64 v[167:168], v[167:168], s[24:25]
	v_add_f64 v[206:207], v[206:207], v[214:215]
	v_add_f64 v[203:204], v[203:204], v[212:213]
	v_fma_f64 v[210:211], v[175:176], s[22:23], v[208:209]
	v_mul_f64 v[212:213], v[181:182], s[22:23]
	v_fma_f64 v[208:209], v[175:176], s[22:23], -v[208:209]
	v_mul_f64 v[181:182], v[181:182], s[28:29]
	v_add_f64 v[210:211], v[210:211], v[218:219]
	v_fma_f64 v[214:215], v[165:166], s[20:21], v[212:213]
	v_add_f64 v[208:209], v[208:209], v[216:217]
	v_fma_f64 v[212:213], v[165:166], s[26:27], v[212:213]
	v_fma_f64 v[216:217], v[175:176], s[28:29], v[167:168]
	v_fma_f64 v[167:168], v[175:176], s[28:29], -v[167:168]
	v_fma_f64 v[218:219], v[165:166], s[30:31], v[181:182]
	v_fma_f64 v[165:166], v[165:166], s[24:25], v[181:182]
	v_add_f64 v[214:215], v[214:215], v[222:223]
	v_add_f64 v[222:223], v[159:160], v[163:164]
	;; [unrolled: 1-line block ×5, first 2 shown]
	v_add_f64 v[224:225], v[157:158], -v[161:162]
	v_mul_f64 v[157:158], v[226:227], s[40:41]
	v_add_f64 v[155:156], v[167:168], v[155:156]
	v_add_f64 v[153:154], v[218:219], v[153:154]
	;; [unrolled: 1-line block ×3, first 2 shown]
	v_fma_f64 v[159:160], v[220:221], s[42:43], v[157:158]
	v_fma_f64 v[157:158], v[220:221], s[42:43], -v[157:158]
	v_add_f64 v[161:162], v[159:160], v[171:172]
	v_mul_f64 v[171:172], v[222:223], s[22:23]
	v_mul_f64 v[159:160], v[222:223], s[42:43]
	v_add_f64 v[157:158], v[157:158], v[169:170]
	v_mul_f64 v[169:170], v[226:227], s[26:27]
	v_fma_f64 v[167:168], v[224:225], s[20:21], v[171:172]
	v_fma_f64 v[171:172], v[224:225], s[26:27], v[171:172]
	;; [unrolled: 1-line block ×4, first 2 shown]
	v_fma_f64 v[169:170], v[220:221], s[22:23], -v[169:170]
	v_fma_f64 v[159:160], v[224:225], s[40:41], v[159:160]
	v_add_f64 v[167:168], v[167:168], v[191:192]
	v_add_f64 v[171:172], v[171:172], v[187:188]
	v_mul_f64 v[187:188], v[222:223], s[14:15]
	v_add_f64 v[163:164], v[163:164], v[183:184]
	v_add_f64 v[165:166], v[165:166], v[185:186]
	;; [unrolled: 1-line block ×3, first 2 shown]
	v_mul_f64 v[179:180], v[222:223], s[36:37]
	v_mul_f64 v[185:186], v[226:227], s[18:19]
	v_add_f64 v[159:160], v[159:160], v[177:178]
	v_mul_f64 v[177:178], v[226:227], s[34:35]
	v_fma_f64 v[183:184], v[224:225], s[16:17], v[187:188]
	v_fma_f64 v[187:188], v[224:225], s[18:19], v[187:188]
	;; [unrolled: 1-line block ×4, first 2 shown]
	v_fma_f64 v[185:186], v[220:221], s[14:15], -v[185:186]
	v_fma_f64 v[173:174], v[220:221], s[36:37], v[177:178]
	v_fma_f64 v[179:180], v[224:225], s[34:35], v[179:180]
	v_add_f64 v[187:188], v[187:188], v[203:204]
	v_mul_f64 v[203:204], v[222:223], s[6:7]
	v_fma_f64 v[177:178], v[220:221], s[36:37], -v[177:178]
	v_add_f64 v[175:176], v[175:176], v[199:200]
	v_add_f64 v[181:182], v[181:182], v[201:202]
	v_mul_f64 v[201:202], v[226:227], s[12:13]
	v_add_f64 v[185:186], v[185:186], v[197:198]
	v_add_f64 v[173:174], v[173:174], v[193:194]
	;; [unrolled: 1-line block ×3, first 2 shown]
	v_fma_f64 v[199:200], v[224:225], s[2:3], v[203:204]
	v_mul_f64 v[193:194], v[226:227], s[24:25]
	v_mul_f64 v[195:196], v[222:223], s[28:29]
	v_add_f64 v[177:178], v[177:178], v[189:190]
	v_fma_f64 v[197:198], v[220:221], s[6:7], v[201:202]
	v_add_f64 v[183:184], v[183:184], v[206:207]
	v_add_f64 v[199:200], v[199:200], v[153:154]
	v_fma_f64 v[153:154], v[220:221], s[6:7], -v[201:202]
	v_fma_f64 v[189:190], v[220:221], s[28:29], v[193:194]
	v_fma_f64 v[191:192], v[224:225], s[30:31], v[195:196]
	v_fma_f64 v[193:194], v[220:221], s[28:29], -v[193:194]
	v_fma_f64 v[195:196], v[224:225], s[24:25], v[195:196]
	v_add_f64 v[197:198], v[197:198], v[216:217]
	v_add_f64 v[201:202], v[153:154], v[155:156]
	v_fma_f64 v[153:154], v[224:225], s[12:13], v[203:204]
	v_add_f64 v[189:190], v[189:190], v[210:211]
	v_add_f64 v[191:192], v[191:192], v[214:215]
	;; [unrolled: 1-line block ×5, first 2 shown]
	buffer_load_dword v153, off, s[48:51], 0 offset:32 ; 4-byte Folded Reload
	buffer_load_dword v154, off, s[48:51], 0 offset:36 ; 4-byte Folded Reload
	;; [unrolled: 1-line block ×4, first 2 shown]
	s_waitcnt vmcnt(0)
	ds_write_b128 v237, v[153:156]
	ds_write_b128 v237, v[161:164] offset:16
	ds_write_b128 v237, v[165:168] offset:32
	;; [unrolled: 1-line block ×12, first 2 shown]
	s_waitcnt lgkmcnt(0)
	; wave barrier
	s_waitcnt lgkmcnt(0)
	ds_read_b128 v[161:164], v255
	ds_read_b128 v[197:200], v0 offset:3328
	ds_read_b128 v[169:172], v0 offset:512
	;; [unrolled: 1-line block ×11, first 2 shown]
	s_and_saveexec_b64 s[2:3], vcc
	s_cbranch_execz .LBB0_11
; %bb.10:
	ds_read_b128 v[157:160], v246 offset:3072
	ds_read_b128 v[149:152], v0 offset:6400
.LBB0_11:
	s_or_b64 exec, exec, s[2:3]
	s_waitcnt lgkmcnt(10)
	v_mul_f64 v[206:207], v[59:60], v[199:200]
	v_mul_f64 v[59:60], v[59:60], v[197:198]
	s_waitcnt lgkmcnt(8)
	v_mul_f64 v[208:209], v[55:56], v[203:204]
	v_mul_f64 v[55:56], v[55:56], v[201:202]
	s_waitcnt lgkmcnt(6)
	v_mul_f64 v[210:211], v[71:72], v[183:184]
	s_waitcnt lgkmcnt(0)
	; wave barrier
	s_waitcnt lgkmcnt(0)
	v_fma_f64 v[197:198], v[57:58], v[197:198], v[206:207]
	v_fma_f64 v[59:60], v[57:58], v[199:200], -v[59:60]
	v_fma_f64 v[199:200], v[53:54], v[201:202], v[208:209]
	v_fma_f64 v[53:54], v[53:54], v[203:204], -v[55:56]
	v_mul_f64 v[55:56], v[71:72], v[181:182]
	v_mul_f64 v[57:58], v[67:68], v[187:188]
	;; [unrolled: 1-line block ×6, first 2 shown]
	v_fma_f64 v[181:182], v[69:70], v[181:182], v[210:211]
	v_add_f64 v[59:60], v[163:164], -v[59:60]
	v_fma_f64 v[55:56], v[69:70], v[183:184], -v[55:56]
	v_fma_f64 v[183:184], v[65:66], v[185:186], v[57:58]
	v_fma_f64 v[185:186], v[65:66], v[187:188], -v[67:68]
	v_fma_f64 v[187:188], v[89:90], v[189:190], v[71:72]
	;; [unrolled: 2-line block ×3, first 2 shown]
	v_mul_f64 v[69:70], v[75:76], v[151:152]
	v_add_f64 v[57:58], v[161:162], -v[197:198]
	v_add_f64 v[89:90], v[153:154], -v[181:182]
	v_mul_f64 v[71:72], v[75:76], v[149:150]
	v_add_f64 v[65:66], v[169:170], -v[199:200]
	v_add_f64 v[67:68], v[171:172], -v[53:54]
	;; [unrolled: 1-line block ×3, first 2 shown]
	v_fma_f64 v[55:56], v[163:164], 2.0, -v[59:60]
	v_fma_f64 v[149:150], v[73:74], v[149:150], v[69:70]
	v_fma_f64 v[53:54], v[161:162], 2.0, -v[57:58]
	v_fma_f64 v[69:70], v[153:154], 2.0, -v[89:90]
	v_add_f64 v[153:154], v[173:174], -v[187:188]
	v_add_f64 v[161:162], v[177:178], -v[191:192]
	v_fma_f64 v[151:152], v[73:74], v[151:152], -v[71:72]
	v_fma_f64 v[73:74], v[169:170], 2.0, -v[65:66]
	v_fma_f64 v[75:76], v[171:172], 2.0, -v[67:68]
	v_add_f64 v[169:170], v[157:158], -v[149:150]
	v_fma_f64 v[71:72], v[155:156], 2.0, -v[91:92]
	v_mul_f64 v[95:96], v[95:96], v[193:194]
	v_fma_f64 v[149:150], v[173:174], 2.0, -v[153:154]
	v_fma_f64 v[173:174], v[177:178], 2.0, -v[161:162]
	buffer_load_dword v177, off, s[48:51], 0 offset:12 ; 4-byte Folded Reload
	v_add_f64 v[155:156], v[175:176], -v[189:190]
	v_add_f64 v[171:172], v[159:160], -v[151:152]
	v_fma_f64 v[157:158], v[157:158], 2.0, -v[169:170]
	s_waitcnt vmcnt(0)
	ds_write_b128 v177, v[53:56]
	ds_write_b128 v177, v[57:60] offset:208
	buffer_load_dword v177, off, s[48:51], 0 offset:8 ; 4-byte Folded Reload
	v_fma_f64 v[193:194], v[93:94], v[195:196], -v[95:96]
	v_add_f64 v[93:94], v[165:166], -v[183:184]
	v_add_f64 v[95:96], v[167:168], -v[185:186]
	v_fma_f64 v[151:152], v[175:176], 2.0, -v[155:156]
	v_fma_f64 v[159:160], v[159:160], 2.0, -v[171:172]
	s_waitcnt vmcnt(0)
	ds_write_b128 v177, v[73:76]
	ds_write_b128 v177, v[65:68] offset:208
	buffer_load_dword v177, off, s[48:51], 0 offset:4 ; 4-byte Folded Reload
	v_fma_f64 v[165:166], v[165:166], 2.0, -v[93:94]
	v_fma_f64 v[167:168], v[167:168], 2.0, -v[95:96]
	v_add_f64 v[163:164], v[179:180], -v[193:194]
	s_waitcnt vmcnt(0)
	ds_write_b128 v177, v[69:72]
	ds_write_b128 v177, v[89:92] offset:208
	buffer_load_dword v177, off, s[48:51], 0 offset:16 ; 4-byte Folded Reload
	v_fma_f64 v[175:176], v[179:180], 2.0, -v[163:164]
	s_waitcnt vmcnt(0)
	ds_write_b128 v177, v[165:168]
	ds_write_b128 v177, v[93:96] offset:208
	buffer_load_dword v177, off, s[48:51], 0 offset:20 ; 4-byte Folded Reload
	s_waitcnt vmcnt(0)
	ds_write_b128 v177, v[149:152]
	ds_write_b128 v177, v[153:156] offset:208
	buffer_load_dword v177, off, s[48:51], 0 offset:24 ; 4-byte Folded Reload
	s_waitcnt vmcnt(0)
	ds_write_b128 v177, v[173:176]
	ds_write_b128 v177, v[161:164] offset:208
	s_and_saveexec_b64 s[2:3], vcc
	s_cbranch_execz .LBB0_13
; %bb.12:
	buffer_load_dword v177, off, s[48:51], 0 ; 4-byte Folded Reload
	buffer_load_dword v178, off, s[48:51], 0 offset:28 ; 4-byte Folded Reload
	s_waitcnt vmcnt(0)
	v_add_u32_sdwa v177, v178, v177 dst_sel:DWORD dst_unused:UNUSED_PAD src0_sel:DWORD src1_sel:BYTE_0
	buffer_load_dword v178, off, s[48:51], 0 offset:48 ; 4-byte Folded Reload
	s_waitcnt vmcnt(0)
	v_lshl_add_u32 v177, v177, 4, v178
	ds_write_b128 v177, v[157:160]
	ds_write_b128 v177, v[169:172] offset:208
.LBB0_13:
	s_or_b64 exec, exec, s[2:3]
	s_waitcnt lgkmcnt(0)
	; wave barrier
	s_waitcnt lgkmcnt(0)
	s_and_saveexec_b64 s[2:3], s[0:1]
	s_cbranch_execz .LBB0_15
; %bb.14:
	ds_read_b128 v[53:56], v255
	ds_read_b128 v[57:60], v0 offset:416
	ds_read_b128 v[73:76], v0 offset:832
	ds_read_b128 v[65:68], v0 offset:1248
	ds_read_b128 v[69:72], v0 offset:1664
	ds_read_b128 v[89:92], v0 offset:2080
	ds_read_b128 v[165:168], v0 offset:2496
	ds_read_b128 v[93:96], v0 offset:2912
	ds_read_b128 v[149:152], v0 offset:3328
	ds_read_b128 v[153:156], v0 offset:3744
	ds_read_b128 v[173:176], v0 offset:4160
	ds_read_b128 v[161:164], v0 offset:4576
	ds_read_b128 v[157:160], v0 offset:4992
	ds_read_b128 v[169:172], v0 offset:5408
	ds_read_b128 v[145:148], v0 offset:5824
	ds_read_b128 v[141:144], v0 offset:6240
.LBB0_15:
	s_or_b64 exec, exec, s[2:3]
	s_and_saveexec_b64 s[2:3], s[0:1]
	s_cbranch_execz .LBB0_17
; %bb.16:
	s_waitcnt lgkmcnt(13)
	v_mul_f64 v[177:178], v[103:104], v[73:74]
	s_waitcnt lgkmcnt(5)
	v_mul_f64 v[179:180], v[123:124], v[173:174]
	v_mul_f64 v[181:182], v[111:112], v[167:168]
	s_waitcnt lgkmcnt(1)
	v_mul_f64 v[183:184], v[135:136], v[147:148]
	v_mul_f64 v[185:186], v[83:84], v[149:150]
	;; [unrolled: 1-line block ×5, first 2 shown]
	v_fma_f64 v[177:178], v[101:102], v[75:76], -v[177:178]
	v_fma_f64 v[179:180], v[121:122], v[175:176], -v[179:180]
	v_fma_f64 v[181:182], v[109:110], v[165:166], v[181:182]
	v_fma_f64 v[183:184], v[133:134], v[145:146], v[183:184]
	v_fma_f64 v[185:186], v[81:82], v[151:152], -v[185:186]
	v_fma_f64 v[187:188], v[61:62], v[69:70], v[187:188]
	v_fma_f64 v[189:190], v[105:106], v[157:158], v[189:190]
	v_mul_f64 v[135:136], v[135:136], v[145:146]
	v_mul_f64 v[191:192], v[99:100], v[95:96]
	v_add_f64 v[165:166], v[177:178], -v[179:180]
	s_waitcnt lgkmcnt(0)
	v_mul_f64 v[193:194], v[131:132], v[143:144]
	v_add_f64 v[179:180], v[181:182], -v[183:184]
	v_add_f64 v[145:146], v[55:56], -v[185:186]
	v_mul_f64 v[185:186], v[79:80], v[65:66]
	v_add_f64 v[183:184], v[187:188], -v[189:190]
	v_mul_f64 v[189:190], v[119:120], v[161:162]
	v_fma_f64 v[109:110], v[109:110], v[167:168], -v[111:112]
	v_fma_f64 v[111:112], v[133:134], v[147:148], -v[135:136]
	v_mul_f64 v[75:76], v[103:104], v[75:76]
	v_mul_f64 v[103:104], v[123:124], v[175:176]
	v_fma_f64 v[135:136], v[97:98], v[93:94], v[191:192]
	v_fma_f64 v[123:124], v[77:78], v[67:68], -v[185:186]
	v_fma_f64 v[147:148], v[129:130], v[141:142], v[193:194]
	v_fma_f64 v[133:134], v[117:118], v[163:164], -v[189:190]
	v_mul_f64 v[167:168], v[87:88], v[57:58]
	v_mul_f64 v[175:176], v[127:128], v[153:154]
	;; [unrolled: 1-line block ×4, first 2 shown]
	v_fma_f64 v[73:74], v[101:102], v[73:74], v[75:76]
	v_fma_f64 v[75:76], v[121:122], v[173:174], v[103:104]
	v_add_f64 v[103:104], v[135:136], -v[147:148]
	v_add_f64 v[101:102], v[123:124], -v[133:134]
	v_fma_f64 v[121:122], v[85:86], v[59:60], -v[167:168]
	v_fma_f64 v[133:134], v[125:126], v[155:156], -v[175:176]
	v_fma_f64 v[147:148], v[113:114], v[89:90], v[185:186]
	v_fma_f64 v[167:168], v[137:138], v[169:170], v[189:190]
	v_mul_f64 v[93:94], v[99:100], v[93:94]
	v_mul_f64 v[99:100], v[131:132], v[141:142]
	;; [unrolled: 1-line block ×8, first 2 shown]
	v_add_f64 v[133:134], v[121:122], -v[133:134]
	v_add_f64 v[167:168], v[147:148], -v[167:168]
	v_fma_f64 v[93:94], v[97:98], v[95:96], -v[93:94]
	v_fma_f64 v[95:96], v[129:130], v[143:144], -v[99:100]
	v_fma_f64 v[65:66], v[77:78], v[65:66], v[67:68]
	v_fma_f64 v[67:68], v[117:118], v[161:162], v[79:80]
	v_fma_f64 v[77:78], v[113:114], v[91:92], -v[89:90]
	v_fma_f64 v[79:80], v[137:138], v[171:172], -v[115:116]
	v_fma_f64 v[57:58], v[85:86], v[57:58], v[59:60]
	v_fma_f64 v[59:60], v[125:126], v[153:154], v[87:88]
	v_mul_f64 v[63:64], v[63:64], v[69:70]
	v_mul_f64 v[69:70], v[107:108], v[157:158]
	;; [unrolled: 1-line block ×3, first 2 shown]
	v_add_f64 v[173:174], v[165:166], -v[179:180]
	v_add_f64 v[175:176], v[145:146], -v[183:184]
	v_add_f64 v[111:112], v[109:110], -v[111:112]
	v_add_f64 v[75:76], v[73:74], -v[75:76]
	v_add_f64 v[185:186], v[101:102], -v[103:104]
	v_add_f64 v[85:86], v[133:134], -v[167:168]
	v_add_f64 v[87:88], v[93:94], -v[95:96]
	v_add_f64 v[67:68], v[65:66], -v[67:68]
	v_add_f64 v[79:80], v[77:78], -v[79:80]
	v_add_f64 v[89:90], v[57:58], -v[59:60]
	v_fma_f64 v[59:60], v[61:62], v[71:72], -v[63:64]
	v_fma_f64 v[61:62], v[105:106], v[159:160], -v[69:70]
	v_fma_f64 v[63:64], v[81:82], v[149:150], v[83:84]
	s_mov_b32 s0, 0x667f3bcd
	s_mov_b32 s1, 0x3fe6a09e
	v_fma_f64 v[69:70], v[173:174], s[0:1], v[175:176]
	v_add_f64 v[71:72], v[111:112], v[75:76]
	v_fma_f64 v[81:82], v[185:186], s[0:1], v[85:86]
	v_add_f64 v[83:84], v[87:88], v[67:68]
	v_add_f64 v[91:92], v[79:80], v[89:90]
	v_add_f64 v[61:62], v[59:60], -v[61:62]
	v_add_f64 v[63:64], v[53:54], -v[63:64]
	s_mov_b32 s7, 0xbfe6a09e
	s_mov_b32 s6, s0
	v_fma_f64 v[69:70], v[71:72], s[6:7], v[69:70]
	s_mov_b32 s12, 0xcf328d46
	v_fma_f64 v[81:82], v[83:84], s[6:7], v[81:82]
	v_fma_f64 v[95:96], v[83:84], s[0:1], v[91:92]
	s_mov_b32 s13, 0x3fed906b
	v_add_f64 v[97:98], v[63:64], v[61:62]
	v_fma_f64 v[107:108], v[55:56], 2.0, -v[145:146]
	v_fma_f64 v[59:60], v[59:60], 2.0, -v[61:62]
	;; [unrolled: 1-line block ×4, first 2 shown]
	v_fma_f64 v[99:100], v[81:82], s[12:13], v[69:70]
	v_fma_f64 v[95:96], v[185:186], s[0:1], v[95:96]
	v_fma_f64 v[113:114], v[121:122], 2.0, -v[133:134]
	v_fma_f64 v[105:106], v[71:72], s[0:1], v[97:98]
	v_fma_f64 v[77:78], v[77:78], 2.0, -v[79:80]
	v_fma_f64 v[65:66], v[65:66], 2.0, -v[67:68]
	;; [unrolled: 1-line block ×3, first 2 shown]
	s_mov_b32 s14, 0xa6aea964
	s_mov_b32 s15, 0xbfd87de2
	v_fma_f64 v[55:56], v[95:96], s[14:15], v[99:100]
	v_add_f64 v[99:100], v[107:108], -v[59:60]
	v_fma_f64 v[117:118], v[173:174], s[0:1], v[105:106]
	v_add_f64 v[73:74], v[61:62], -v[73:74]
	v_add_f64 v[77:78], v[113:114], -v[77:78]
	;; [unrolled: 1-line block ×3, first 2 shown]
	v_fma_f64 v[103:104], v[123:124], 2.0, -v[101:102]
	v_fma_f64 v[87:88], v[93:94], 2.0, -v[87:88]
	;; [unrolled: 1-line block ×12, first 2 shown]
	v_add_f64 v[115:116], v[99:100], -v[73:74]
	v_add_f64 v[119:120], v[77:78], -v[79:80]
	;; [unrolled: 1-line block ×4, first 2 shown]
	v_fma_f64 v[129:130], v[123:124], s[6:7], v[121:122]
	v_fma_f64 v[71:72], v[75:76], 2.0, -v[71:72]
	v_fma_f64 v[75:76], v[101:102], s[6:7], v[125:126]
	v_fma_f64 v[67:68], v[67:68], 2.0, -v[83:84]
	v_fma_f64 v[89:90], v[89:90], 2.0, -v[91:92]
	;; [unrolled: 1-line block ×3, first 2 shown]
	v_add_f64 v[83:84], v[127:128], -v[109:110]
	v_add_f64 v[111:112], v[53:54], -v[111:112]
	v_fma_f64 v[63:64], v[119:120], s[0:1], v[115:116]
	v_add_f64 v[109:110], v[87:88], v[105:106]
	v_fma_f64 v[129:130], v[71:72], s[6:7], v[129:130]
	v_fma_f64 v[133:134], v[67:68], s[6:7], v[75:76]
	;; [unrolled: 1-line block ×4, first 2 shown]
	v_fma_f64 v[75:76], v[127:128], 2.0, -v[83:84]
	v_fma_f64 v[57:58], v[57:58], 2.0, -v[105:106]
	;; [unrolled: 1-line block ×3, first 2 shown]
	v_add_f64 v[127:128], v[111:112], v[83:84]
	v_fma_f64 v[93:94], v[95:96], s[12:13], v[117:118]
	s_mov_b32 s17, 0x3fd87de2
	v_fma_f64 v[107:108], v[107:108], 2.0, -v[99:100]
	s_mov_b32 s16, s14
	v_fma_f64 v[63:64], v[109:110], s[6:7], v[63:64]
	v_fma_f64 v[139:140], v[53:54], 2.0, -v[111:112]
	v_fma_f64 v[53:54], v[61:62], 2.0, -v[73:74]
	;; [unrolled: 1-line block ×4, first 2 shown]
	v_fma_f64 v[79:80], v[133:134], s[16:17], v[129:130]
	v_fma_f64 v[101:102], v[101:102], s[0:1], v[67:68]
	;; [unrolled: 1-line block ×3, first 2 shown]
	v_add_f64 v[137:138], v[57:58], -v[65:66]
	v_fma_f64 v[65:66], v[109:110], s[0:1], v[127:128]
	v_add_f64 v[135:136], v[107:108], -v[75:76]
	s_mov_b32 s19, 0xbfed906b
	s_mov_b32 s18, s12
	v_add_f64 v[141:142], v[139:140], -v[53:54]
	v_add_f64 v[87:88], v[73:74], -v[61:62]
	v_fma_f64 v[103:104], v[175:176], 2.0, -v[69:70]
	v_fma_f64 v[85:86], v[85:86], 2.0, -v[81:82]
	v_fma_f64 v[53:54], v[81:82], s[16:17], v[93:94]
	v_fma_f64 v[75:76], v[115:116], 2.0, -v[63:64]
	v_fma_f64 v[113:114], v[99:100], 2.0, -v[115:116]
	;; [unrolled: 1-line block ×5, first 2 shown]
	v_fma_f64 v[67:68], v[101:102], s[18:19], v[79:80]
	v_fma_f64 v[83:84], v[101:102], s[16:17], v[123:124]
	v_fma_f64 v[89:90], v[89:90], 2.0, -v[101:102]
	v_fma_f64 v[101:102], v[131:132], 2.0, -v[123:124]
	;; [unrolled: 1-line block ×5, first 2 shown]
	v_fma_f64 v[61:62], v[119:120], s[0:1], v[65:66]
	v_fma_f64 v[119:120], v[97:98], 2.0, -v[117:118]
	v_fma_f64 v[81:82], v[85:86], s[14:15], v[103:104]
	v_fma_f64 v[97:98], v[77:78], s[6:7], v[113:114]
	;; [unrolled: 1-line block ×3, first 2 shown]
	v_fma_f64 v[109:110], v[107:108], 2.0, -v[135:136]
	v_fma_f64 v[73:74], v[73:74], 2.0, -v[87:88]
	;; [unrolled: 1-line block ×4, first 2 shown]
	v_fma_f64 v[107:108], v[89:90], s[18:19], v[101:102]
	v_fma_f64 v[111:112], v[95:96], s[6:7], v[105:106]
	;; [unrolled: 1-line block ×3, first 2 shown]
	v_fma_f64 v[59:60], v[69:70], 2.0, -v[55:56]
	v_add_f64 v[69:70], v[141:142], v[87:88]
	v_fma_f64 v[87:88], v[91:92], s[18:19], v[81:82]
	v_fma_f64 v[91:92], v[95:96], s[6:7], v[97:98]
	;; [unrolled: 1-line block ×3, first 2 shown]
	v_add_f64 v[99:100], v[109:110], -v[73:74]
	v_add_f64 v[97:98], v[121:122], -v[57:58]
	v_fma_f64 v[93:94], v[93:94], s[16:17], v[107:108]
	v_fma_f64 v[89:90], v[77:78], s[0:1], v[111:112]
	;; [unrolled: 1-line block ×3, first 2 shown]
	v_add_f64 v[71:72], v[135:136], -v[137:138]
	v_fma_f64 v[65:66], v[133:134], s[12:13], v[83:84]
	v_fma_f64 v[107:108], v[113:114], 2.0, -v[91:92]
	v_fma_f64 v[111:112], v[115:116], 2.0, -v[95:96]
	;; [unrolled: 1-line block ×14, first 2 shown]
	ds_write_b128 v255, v[113:116]
	ds_write_b128 v0, v[109:112] offset:416
	ds_write_b128 v0, v[105:108] offset:832
	;; [unrolled: 1-line block ×15, first 2 shown]
.LBB0_17:
	s_or_b64 exec, exec, s[2:3]
	s_waitcnt lgkmcnt(0)
	; wave barrier
	s_waitcnt lgkmcnt(0)
	ds_read_b128 v[53:56], v255
	ds_read_b128 v[57:60], v0 offset:512
	v_mad_u64_u32 v[63:64], s[0:1], s10, v205, 0
	v_mad_u64_u32 v[65:66], s[2:3], s8, v234, 0
	s_waitcnt lgkmcnt(1)
	v_mul_f64 v[61:62], v[51:52], v[55:56]
	v_mul_f64 v[51:52], v[51:52], v[53:54]
	s_mov_b32 s0, 0x13b13b14
	s_mov_b32 s1, 0x3f63b13b
	v_fma_f64 v[53:54], v[49:50], v[53:54], v[61:62]
	v_fma_f64 v[51:52], v[49:50], v[55:56], -v[51:52]
	v_mad_u64_u32 v[49:50], s[2:3], s11, v205, v[64:65]
	v_mov_b32_e32 v50, v66
	s_waitcnt lgkmcnt(0)
	v_mul_f64 v[61:62], v[27:28], v[59:60]
	v_mov_b32_e32 v64, v49
	v_mul_f64 v[27:28], v[27:28], v[57:58]
	v_mad_u64_u32 v[55:56], s[2:3], s9, v234, v[50:51]
	v_mul_f64 v[49:50], v[53:54], s[0:1]
	v_lshlrev_b64 v[53:54], 4, v[63:64]
	v_mov_b32_e32 v66, v55
	v_mov_b32_e32 v55, s5
	v_add_co_u32_e32 v67, vcc, s4, v53
	v_addc_co_u32_e32 v68, vcc, v55, v54, vcc
	ds_read_b128 v[53:56], v0 offset:1024
	v_mul_f64 v[51:52], v[51:52], s[0:1]
	v_fma_f64 v[57:58], v[25:26], v[57:58], v[61:62]
	v_fma_f64 v[59:60], v[25:26], v[59:60], -v[27:28]
	ds_read_b128 v[25:28], v0 offset:1536
	s_waitcnt lgkmcnt(1)
	v_mul_f64 v[61:62], v[39:40], v[55:56]
	v_mul_f64 v[39:40], v[39:40], v[53:54]
	v_lshlrev_b64 v[63:64], 4, v[65:66]
	s_lshl_b64 s[2:3], s[8:9], 9
	v_add_co_u32_e32 v63, vcc, v67, v63
	v_addc_co_u32_e32 v64, vcc, v68, v64, vcc
	global_store_dwordx4 v[63:64], v[49:52], off
	v_fma_f64 v[53:54], v[37:38], v[53:54], v[61:62]
	v_mul_f64 v[49:50], v[57:58], s[0:1]
	v_mul_f64 v[51:52], v[59:60], s[0:1]
	v_fma_f64 v[39:40], v[37:38], v[55:56], -v[39:40]
	s_waitcnt lgkmcnt(0)
	v_mul_f64 v[55:56], v[31:32], v[27:28]
	v_mul_f64 v[31:32], v[31:32], v[25:26]
	v_mov_b32_e32 v59, s3
	v_add_co_u32_e32 v57, vcc, s2, v63
	v_addc_co_u32_e32 v58, vcc, v64, v59, vcc
	global_store_dwordx4 v[57:58], v[49:52], off
	v_mul_f64 v[37:38], v[53:54], s[0:1]
	ds_read_b128 v[49:52], v0 offset:2048
	v_fma_f64 v[53:54], v[29:30], v[25:26], v[55:56]
	v_fma_f64 v[31:32], v[29:30], v[27:28], -v[31:32]
	ds_read_b128 v[25:28], v0 offset:2560
	v_mul_f64 v[39:40], v[39:40], s[0:1]
	s_waitcnt lgkmcnt(1)
	v_mul_f64 v[55:56], v[43:44], v[51:52]
	v_mul_f64 v[43:44], v[43:44], v[49:50]
	v_add_co_u32_e32 v57, vcc, s2, v57
	v_mul_f64 v[29:30], v[53:54], s[0:1]
	v_mul_f64 v[31:32], v[31:32], s[0:1]
	v_addc_co_u32_e32 v58, vcc, v58, v59, vcc
	global_store_dwordx4 v[57:58], v[37:40], off
	s_nop 0
	v_fma_f64 v[37:38], v[41:42], v[49:50], v[55:56]
	v_fma_f64 v[39:40], v[41:42], v[51:52], -v[43:44]
	s_waitcnt lgkmcnt(0)
	v_mul_f64 v[41:42], v[23:24], v[27:28]
	v_mul_f64 v[23:24], v[23:24], v[25:26]
	v_add_co_u32_e32 v43, vcc, s2, v57
	v_addc_co_u32_e32 v44, vcc, v58, v59, vcc
	global_store_dwordx4 v[43:44], v[29:32], off
	ds_read_b128 v[29:32], v246 offset:3072
	v_mul_f64 v[37:38], v[37:38], s[0:1]
	v_mul_f64 v[39:40], v[39:40], s[0:1]
	v_fma_f64 v[25:26], v[21:22], v[25:26], v[41:42]
	v_fma_f64 v[23:24], v[21:22], v[27:28], -v[23:24]
	s_waitcnt lgkmcnt(0)
	v_mul_f64 v[41:42], v[47:48], v[31:32]
	v_mul_f64 v[47:48], v[47:48], v[29:30]
	v_add_co_u32_e32 v43, vcc, s2, v43
	v_addc_co_u32_e32 v44, vcc, v44, v59, vcc
	global_store_dwordx4 v[43:44], v[37:40], off
	v_mul_f64 v[21:22], v[25:26], s[0:1]
	ds_read_b128 v[25:28], v0 offset:3584
	v_mul_f64 v[23:24], v[23:24], s[0:1]
	v_fma_f64 v[37:38], v[45:46], v[29:30], v[41:42]
	v_fma_f64 v[39:40], v[45:46], v[31:32], -v[47:48]
	ds_read_b128 v[29:32], v0 offset:4096
	s_waitcnt lgkmcnt(1)
	v_mul_f64 v[41:42], v[15:16], v[27:28]
	v_mul_f64 v[15:16], v[15:16], v[25:26]
	v_add_co_u32_e32 v43, vcc, s2, v43
	v_addc_co_u32_e32 v44, vcc, v44, v59, vcc
	global_store_dwordx4 v[43:44], v[21:24], off
	v_fma_f64 v[25:26], v[13:14], v[25:26], v[41:42]
	v_mul_f64 v[21:22], v[37:38], s[0:1]
	v_mul_f64 v[23:24], v[39:40], s[0:1]
	v_fma_f64 v[15:16], v[13:14], v[27:28], -v[15:16]
	s_waitcnt lgkmcnt(0)
	v_mul_f64 v[27:28], v[19:20], v[31:32]
	v_mul_f64 v[37:38], v[19:20], v[29:30]
	v_add_co_u32_e32 v39, vcc, s2, v43
	v_addc_co_u32_e32 v40, vcc, v44, v59, vcc
	global_store_dwordx4 v[39:40], v[21:24], off
	ds_read_b128 v[19:22], v0 offset:4608
	v_mul_f64 v[13:14], v[25:26], s[0:1]
	ds_read_b128 v[23:26], v0 offset:5120
	v_mul_f64 v[15:16], v[15:16], s[0:1]
	v_fma_f64 v[27:28], v[17:18], v[29:30], v[27:28]
	v_fma_f64 v[17:18], v[17:18], v[31:32], -v[37:38]
	s_waitcnt lgkmcnt(1)
	v_mul_f64 v[29:30], v[11:12], v[21:22]
	v_mul_f64 v[31:32], v[11:12], v[19:20]
	v_add_co_u32_e32 v37, vcc, s2, v39
	v_addc_co_u32_e32 v38, vcc, v40, v59, vcc
	global_store_dwordx4 v[37:38], v[13:16], off
	v_mul_f64 v[11:12], v[27:28], s[0:1]
	v_mul_f64 v[13:14], v[17:18], s[0:1]
	v_fma_f64 v[15:16], v[9:10], v[19:20], v[29:30]
	v_fma_f64 v[17:18], v[9:10], v[21:22], -v[31:32]
	s_waitcnt lgkmcnt(0)
	v_mul_f64 v[21:22], v[3:4], v[25:26]
	v_add_co_u32_e32 v27, vcc, s2, v37
	v_mul_f64 v[3:4], v[3:4], v[23:24]
	v_addc_co_u32_e32 v28, vcc, v38, v59, vcc
	global_store_dwordx4 v[27:28], v[11:14], off
	v_mul_f64 v[9:10], v[15:16], s[0:1]
	ds_read_b128 v[13:16], v0 offset:5632
	v_mul_f64 v[11:12], v[17:18], s[0:1]
	ds_read_b128 v[17:20], v0 offset:6144
	v_fma_f64 v[21:22], v[1:2], v[23:24], v[21:22]
	v_fma_f64 v[2:3], v[1:2], v[25:26], -v[3:4]
	s_waitcnt lgkmcnt(1)
	v_mul_f64 v[23:24], v[7:8], v[15:16]
	v_mul_f64 v[7:8], v[7:8], v[13:14]
	s_waitcnt lgkmcnt(0)
	v_mul_f64 v[25:26], v[35:36], v[19:20]
	v_mul_f64 v[29:30], v[35:36], v[17:18]
	v_add_co_u32_e32 v27, vcc, s2, v27
	v_addc_co_u32_e32 v28, vcc, v28, v59, vcc
	global_store_dwordx4 v[27:28], v[9:12], off
	v_mul_f64 v[0:1], v[21:22], s[0:1]
	v_fma_f64 v[9:10], v[5:6], v[13:14], v[23:24]
	v_fma_f64 v[6:7], v[5:6], v[15:16], -v[7:8]
	v_mul_f64 v[2:3], v[2:3], s[0:1]
	v_fma_f64 v[11:12], v[33:34], v[17:18], v[25:26]
	v_fma_f64 v[13:14], v[33:34], v[19:20], -v[29:30]
	v_add_co_u32_e32 v15, vcc, s2, v27
	v_addc_co_u32_e32 v16, vcc, v28, v59, vcc
	v_mul_f64 v[4:5], v[9:10], s[0:1]
	v_mul_f64 v[6:7], v[6:7], s[0:1]
	global_store_dwordx4 v[15:16], v[0:3], off
	v_add_co_u32_e32 v8, vcc, s2, v15
	v_mul_f64 v[0:1], v[11:12], s[0:1]
	v_mul_f64 v[2:3], v[13:14], s[0:1]
	v_addc_co_u32_e32 v9, vcc, v16, v59, vcc
	global_store_dwordx4 v[8:9], v[4:7], off
	s_nop 0
	v_add_co_u32_e32 v4, vcc, s2, v8
	v_addc_co_u32_e32 v5, vcc, v9, v59, vcc
	global_store_dwordx4 v[4:5], v[0:3], off
.LBB0_18:
	s_endpgm
	.section	.rodata,"a",@progbits
	.p2align	6, 0x0
	.amdhsa_kernel bluestein_single_back_len416_dim1_dp_op_CI_CI
		.amdhsa_group_segment_fixed_size 13312
		.amdhsa_private_segment_fixed_size 56
		.amdhsa_kernarg_size 104
		.amdhsa_user_sgpr_count 6
		.amdhsa_user_sgpr_private_segment_buffer 1
		.amdhsa_user_sgpr_dispatch_ptr 0
		.amdhsa_user_sgpr_queue_ptr 0
		.amdhsa_user_sgpr_kernarg_segment_ptr 1
		.amdhsa_user_sgpr_dispatch_id 0
		.amdhsa_user_sgpr_flat_scratch_init 0
		.amdhsa_user_sgpr_private_segment_size 0
		.amdhsa_uses_dynamic_stack 0
		.amdhsa_system_sgpr_private_segment_wavefront_offset 1
		.amdhsa_system_sgpr_workgroup_id_x 1
		.amdhsa_system_sgpr_workgroup_id_y 0
		.amdhsa_system_sgpr_workgroup_id_z 0
		.amdhsa_system_sgpr_workgroup_info 0
		.amdhsa_system_vgpr_workitem_id 0
		.amdhsa_next_free_vgpr 256
		.amdhsa_next_free_sgpr 52
		.amdhsa_reserve_vcc 1
		.amdhsa_reserve_flat_scratch 0
		.amdhsa_float_round_mode_32 0
		.amdhsa_float_round_mode_16_64 0
		.amdhsa_float_denorm_mode_32 3
		.amdhsa_float_denorm_mode_16_64 3
		.amdhsa_dx10_clamp 1
		.amdhsa_ieee_mode 1
		.amdhsa_fp16_overflow 0
		.amdhsa_exception_fp_ieee_invalid_op 0
		.amdhsa_exception_fp_denorm_src 0
		.amdhsa_exception_fp_ieee_div_zero 0
		.amdhsa_exception_fp_ieee_overflow 0
		.amdhsa_exception_fp_ieee_underflow 0
		.amdhsa_exception_fp_ieee_inexact 0
		.amdhsa_exception_int_div_zero 0
	.end_amdhsa_kernel
	.text
.Lfunc_end0:
	.size	bluestein_single_back_len416_dim1_dp_op_CI_CI, .Lfunc_end0-bluestein_single_back_len416_dim1_dp_op_CI_CI
                                        ; -- End function
	.section	.AMDGPU.csdata,"",@progbits
; Kernel info:
; codeLenInByte = 17160
; NumSgprs: 56
; NumVgprs: 256
; ScratchSize: 56
; MemoryBound: 0
; FloatMode: 240
; IeeeMode: 1
; LDSByteSize: 13312 bytes/workgroup (compile time only)
; SGPRBlocks: 6
; VGPRBlocks: 63
; NumSGPRsForWavesPerEU: 56
; NumVGPRsForWavesPerEU: 256
; Occupancy: 1
; WaveLimiterHint : 1
; COMPUTE_PGM_RSRC2:SCRATCH_EN: 1
; COMPUTE_PGM_RSRC2:USER_SGPR: 6
; COMPUTE_PGM_RSRC2:TRAP_HANDLER: 0
; COMPUTE_PGM_RSRC2:TGID_X_EN: 1
; COMPUTE_PGM_RSRC2:TGID_Y_EN: 0
; COMPUTE_PGM_RSRC2:TGID_Z_EN: 0
; COMPUTE_PGM_RSRC2:TIDIG_COMP_CNT: 0
	.type	__hip_cuid_92fbfa97ae66e7c2,@object ; @__hip_cuid_92fbfa97ae66e7c2
	.section	.bss,"aw",@nobits
	.globl	__hip_cuid_92fbfa97ae66e7c2
__hip_cuid_92fbfa97ae66e7c2:
	.byte	0                               ; 0x0
	.size	__hip_cuid_92fbfa97ae66e7c2, 1

	.ident	"AMD clang version 19.0.0git (https://github.com/RadeonOpenCompute/llvm-project roc-6.4.0 25133 c7fe45cf4b819c5991fe208aaa96edf142730f1d)"
	.section	".note.GNU-stack","",@progbits
	.addrsig
	.addrsig_sym __hip_cuid_92fbfa97ae66e7c2
	.amdgpu_metadata
---
amdhsa.kernels:
  - .args:
      - .actual_access:  read_only
        .address_space:  global
        .offset:         0
        .size:           8
        .value_kind:     global_buffer
      - .actual_access:  read_only
        .address_space:  global
        .offset:         8
        .size:           8
        .value_kind:     global_buffer
      - .actual_access:  read_only
        .address_space:  global
        .offset:         16
        .size:           8
        .value_kind:     global_buffer
      - .actual_access:  read_only
        .address_space:  global
        .offset:         24
        .size:           8
        .value_kind:     global_buffer
      - .actual_access:  read_only
        .address_space:  global
        .offset:         32
        .size:           8
        .value_kind:     global_buffer
      - .offset:         40
        .size:           8
        .value_kind:     by_value
      - .address_space:  global
        .offset:         48
        .size:           8
        .value_kind:     global_buffer
      - .address_space:  global
        .offset:         56
        .size:           8
        .value_kind:     global_buffer
      - .address_space:  global
        .offset:         64
        .size:           8
        .value_kind:     global_buffer
      - .address_space:  global
        .offset:         72
        .size:           8
        .value_kind:     global_buffer
      - .offset:         80
        .size:           4
        .value_kind:     by_value
      - .address_space:  global
        .offset:         88
        .size:           8
        .value_kind:     global_buffer
      - .address_space:  global
        .offset:         96
        .size:           8
        .value_kind:     global_buffer
    .group_segment_fixed_size: 13312
    .kernarg_segment_align: 8
    .kernarg_segment_size: 104
    .language:       OpenCL C
    .language_version:
      - 2
      - 0
    .max_flat_workgroup_size: 64
    .name:           bluestein_single_back_len416_dim1_dp_op_CI_CI
    .private_segment_fixed_size: 56
    .sgpr_count:     56
    .sgpr_spill_count: 0
    .symbol:         bluestein_single_back_len416_dim1_dp_op_CI_CI.kd
    .uniform_work_group_size: 1
    .uses_dynamic_stack: false
    .vgpr_count:     256
    .vgpr_spill_count: 13
    .wavefront_size: 64
amdhsa.target:   amdgcn-amd-amdhsa--gfx906
amdhsa.version:
  - 1
  - 2
...

	.end_amdgpu_metadata
